;; amdgpu-corpus repo=ggml-org/llama.cpp kind=compiled arch=gfx1030 opt=O3
	.amdgcn_target "amdgcn-amd-amdhsa--gfx1030"
	.amdhsa_code_object_version 6
	.section	.text._ZL18get_batch_pointersPKfPfPS0_PS1_llmmmm,"axG",@progbits,_ZL18get_batch_pointersPKfPfPS0_PS1_llmmmm,comdat
	.globl	_ZL18get_batch_pointersPKfPfPS0_PS1_llmmmm ; -- Begin function _ZL18get_batch_pointersPKfPfPS0_PS1_llmmmm
	.p2align	8
	.type	_ZL18get_batch_pointersPKfPfPS0_PS1_llmmmm,@function
_ZL18get_batch_pointersPKfPfPS0_PS1_llmmmm: ; @_ZL18get_batch_pointersPKfPfPS0_PS1_llmmmm
; %bb.0:
	s_clause 0x1
	s_load_dword s0, s[4:5], 0x5c
	s_load_dwordx16 s[8:23], s[4:5], 0x0
	s_waitcnt lgkmcnt(0)
	s_and_b32 s0, s0, 0xffff
	v_mad_u64_u32 v[0:1], null, s6, s0, v[0:1]
	s_mov_b32 s0, exec_lo
	v_ashrrev_i32_e32 v1, 31, v0
	v_cmpx_gt_i64_e64 s[18:19], v[0:1]
	s_cbranch_execz .LBB0_6
; %bb.1:
	v_or_b32_e32 v3, s17, v1
	v_mov_b32_e32 v2, 0
	v_cmp_ne_u64_e32 vcc_lo, 0, v[2:3]
                                        ; implicit-def: $vgpr2_vgpr3
	s_and_saveexec_b32 s0, vcc_lo
	s_xor_b32 s1, exec_lo, s0
	s_cbranch_execz .LBB0_3
; %bb.2:
	s_ashr_i32 s2, s17, 31
	v_ashrrev_i32_e32 v8, 31, v1
	s_add_u32 s6, s16, s2
	s_mov_b32 s3, s2
	s_addc_u32 s7, s17, s2
	s_xor_b64 s[6:7], s[6:7], s[2:3]
	v_add_co_u32 v4, vcc_lo, v0, v8
	v_cvt_f32_u32_e32 v2, s6
	v_cvt_f32_u32_e32 v3, s7
	s_sub_u32 s18, 0, s6
	s_subb_u32 s19, 0, s7
	v_add_co_ci_u32_e64 v5, null, v1, v8, vcc_lo
	v_fmamk_f32 v2, v3, 0x4f800000, v2
	v_xor_b32_e32 v9, v4, v8
	v_xor_b32_e32 v10, v5, v8
	v_rcp_f32_e32 v2, v2
	v_mul_f32_e32 v2, 0x5f7ffffc, v2
	v_mul_f32_e32 v3, 0x2f800000, v2
	v_trunc_f32_e32 v3, v3
	v_fmamk_f32 v2, v3, 0xcf800000, v2
	v_cvt_u32_f32_e32 v3, v3
	v_cvt_u32_f32_e32 v2, v2
	v_readfirstlane_b32 s0, v3
	v_readfirstlane_b32 s3, v2
	s_mul_i32 s24, s18, s0
	s_mul_hi_u32 s26, s18, s3
	s_mul_i32 s25, s19, s3
	s_add_i32 s24, s26, s24
	s_mul_i32 s27, s18, s3
	s_add_i32 s24, s24, s25
	s_mul_hi_u32 s26, s3, s27
	s_mul_i32 s29, s3, s24
	s_mul_hi_u32 s28, s0, s27
	s_mul_i32 s25, s0, s27
	s_mul_hi_u32 s27, s3, s24
	s_add_u32 s26, s26, s29
	s_addc_u32 s27, 0, s27
	s_mul_hi_u32 s30, s0, s24
	s_add_u32 s25, s26, s25
	s_mul_i32 s24, s0, s24
	s_addc_u32 s25, s27, s28
	s_addc_u32 s26, s30, 0
	s_add_u32 s24, s25, s24
	s_addc_u32 s25, 0, s26
	s_add_u32 s3, s3, s24
	s_cselect_b32 s24, -1, 0
	s_mul_hi_u32 s26, s18, s3
	s_cmp_lg_u32 s24, 0
	s_mul_i32 s24, s18, s3
	s_addc_u32 s0, s0, s25
	s_mul_i32 s19, s19, s3
	s_mul_i32 s18, s18, s0
	s_mul_hi_u32 s25, s3, s24
	s_add_i32 s18, s26, s18
	s_mul_hi_u32 s26, s0, s24
	s_add_i32 s18, s18, s19
	s_mul_i32 s19, s0, s24
	s_mul_i32 s28, s3, s18
	s_mul_hi_u32 s27, s3, s18
	s_add_u32 s25, s25, s28
	s_addc_u32 s27, 0, s27
	s_mul_hi_u32 s24, s0, s18
	s_add_u32 s19, s25, s19
	s_mul_i32 s18, s0, s18
	s_addc_u32 s19, s27, s26
	s_addc_u32 s24, s24, 0
	s_add_u32 s18, s19, s18
	s_addc_u32 s19, 0, s24
	s_add_u32 s3, s3, s18
	s_cselect_b32 s18, -1, 0
	v_mul_hi_u32 v11, v9, s3
	s_cmp_lg_u32 s18, 0
	v_mad_u64_u32 v[4:5], null, v10, s3, 0
	s_addc_u32 s0, s0, s19
	v_mad_u64_u32 v[2:3], null, v9, s0, 0
	v_mad_u64_u32 v[6:7], null, v10, s0, 0
	v_add_co_u32 v2, vcc_lo, v11, v2
	v_add_co_ci_u32_e64 v3, null, 0, v3, vcc_lo
	v_add_co_u32 v2, vcc_lo, v2, v4
	v_add_co_ci_u32_e32 v2, vcc_lo, v3, v5, vcc_lo
	v_add_co_ci_u32_e32 v3, vcc_lo, 0, v7, vcc_lo
	v_add_co_u32 v4, vcc_lo, v2, v6
	v_add_co_ci_u32_e64 v5, null, 0, v3, vcc_lo
	v_mul_lo_u32 v6, s7, v4
	v_mad_u64_u32 v[2:3], null, s6, v4, 0
	v_mul_lo_u32 v7, s6, v5
	v_sub_co_u32 v2, vcc_lo, v9, v2
	v_add3_u32 v3, v3, v7, v6
	v_add_co_u32 v7, s0, v4, 2
	v_add_co_ci_u32_e64 v9, null, 0, v5, s0
	v_sub_nc_u32_e32 v6, v10, v3
	v_sub_co_u32 v11, s0, v2, s6
	v_sub_co_ci_u32_e64 v3, null, v10, v3, vcc_lo
	v_subrev_co_ci_u32_e64 v6, null, s7, v6, vcc_lo
	v_cmp_le_u32_e32 vcc_lo, s6, v11
	v_subrev_co_ci_u32_e64 v6, null, 0, v6, s0
	v_cndmask_b32_e64 v10, 0, -1, vcc_lo
	v_cmp_le_u32_e32 vcc_lo, s7, v6
	v_cndmask_b32_e64 v11, 0, -1, vcc_lo
	v_cmp_le_u32_e32 vcc_lo, s6, v2
	;; [unrolled: 2-line block ×3, first 2 shown]
	v_cndmask_b32_e64 v12, 0, -1, vcc_lo
	v_cmp_eq_u32_e32 vcc_lo, s7, v6
	v_cndmask_b32_e32 v6, v11, v10, vcc_lo
	v_add_co_u32 v10, vcc_lo, v4, 1
	v_add_co_ci_u32_e64 v11, null, 0, v5, vcc_lo
	v_cmp_eq_u32_e32 vcc_lo, s7, v3
	v_cndmask_b32_e32 v2, v12, v2, vcc_lo
	v_cmp_ne_u32_e32 vcc_lo, 0, v6
	v_xor_b32_e32 v6, s2, v8
	v_cmp_ne_u32_e64 s0, 0, v2
	v_cndmask_b32_e32 v2, v10, v7, vcc_lo
	v_cndmask_b32_e32 v3, v11, v9, vcc_lo
	v_cndmask_b32_e64 v2, v4, v2, s0
	v_cndmask_b32_e64 v3, v5, v3, s0
	v_xor_b32_e32 v2, v2, v6
	v_xor_b32_e32 v3, v3, v6
	v_sub_co_u32 v2, vcc_lo, v2, v6
	v_sub_co_ci_u32_e64 v3, null, v3, v6, vcc_lo
.LBB0_3:
	s_andn2_saveexec_b32 s0, s1
	s_cbranch_execz .LBB0_5
; %bb.4:
	v_cvt_f32_u32_e32 v2, s16
	s_sub_i32 s1, 0, s16
	v_rcp_iflag_f32_e32 v2, v2
	v_mul_f32_e32 v2, 0x4f7ffffe, v2
	v_cvt_u32_f32_e32 v2, v2
	v_mul_lo_u32 v3, s1, v2
	v_mul_hi_u32 v3, v2, v3
	v_add_nc_u32_e32 v2, v2, v3
	v_mul_hi_u32 v2, v0, v2
	v_mul_lo_u32 v3, v2, s16
	v_add_nc_u32_e32 v4, 1, v2
	v_sub_nc_u32_e32 v3, v0, v3
	v_subrev_nc_u32_e32 v5, s16, v3
	v_cmp_le_u32_e32 vcc_lo, s16, v3
	v_cndmask_b32_e32 v3, v3, v5, vcc_lo
	v_cndmask_b32_e32 v2, v2, v4, vcc_lo
	v_cmp_le_u32_e32 vcc_lo, s16, v3
	v_add_nc_u32_e32 v4, 1, v2
	v_mov_b32_e32 v3, 0
	v_cndmask_b32_e32 v2, v2, v4, vcc_lo
.LBB0_5:
	s_or_b32 exec_lo, exec_lo, s0
	s_load_dwordx4 s[0:3], s[4:5], 0x40
	v_mul_lo_u32 v8, v3, s16
	v_mul_lo_u32 v9, v2, s17
	v_mad_u64_u32 v[4:5], null, v2, s16, 0
	v_mul_lo_u32 v10, v3, s22
	v_mul_lo_u32 v11, v2, s23
	v_mad_u64_u32 v[6:7], null, v2, s22, 0
	v_add3_u32 v5, v5, v9, v8
	v_sub_co_u32 v8, vcc_lo, v0, v4
	v_add3_u32 v7, v7, v11, v10
	v_sub_co_ci_u32_e64 v9, null, v1, v5, vcc_lo
	v_mul_lo_u32 v10, v8, s21
	v_mad_u64_u32 v[4:5], null, v8, s20, 0
	v_mul_lo_u32 v11, v9, s20
	s_waitcnt lgkmcnt(0)
	v_mul_lo_u32 v12, v3, s2
	v_mul_lo_u32 v13, v2, s3
	v_mad_u64_u32 v[2:3], null, v2, s2, 0
	v_lshlrev_b64 v[6:7], 2, v[6:7]
	v_mul_lo_u32 v14, v9, s0
	v_lshlrev_b64 v[0:1], 3, v[0:1]
	v_add3_u32 v5, v5, v10, v11
	v_mul_lo_u32 v10, v8, s1
	v_mad_u64_u32 v[8:9], null, v8, s0, 0
	v_add3_u32 v3, v3, v13, v12
	v_lshlrev_b64 v[4:5], 2, v[4:5]
	v_add_co_u32 v6, vcc_lo, s8, v6
	v_add_co_ci_u32_e64 v7, null, s9, v7, vcc_lo
	v_lshlrev_b64 v[2:3], 2, v[2:3]
	v_add3_u32 v9, v9, v10, v14
	v_add_co_u32 v4, vcc_lo, v6, v4
	v_add_co_ci_u32_e64 v5, null, v7, v5, vcc_lo
	v_add_co_u32 v10, vcc_lo, s10, v2
	v_add_co_ci_u32_e64 v11, null, s11, v3, vcc_lo
	v_lshlrev_b64 v[2:3], 2, v[8:9]
	v_add_co_u32 v6, vcc_lo, s12, v0
	v_add_co_ci_u32_e64 v7, null, s13, v1, vcc_lo
	v_add_co_u32 v2, vcc_lo, v10, v2
	v_add_co_ci_u32_e64 v3, null, v11, v3, vcc_lo
	;; [unrolled: 2-line block ×3, first 2 shown]
	global_store_dwordx2 v[6:7], v[4:5], off
	global_store_dwordx2 v[0:1], v[2:3], off
.LBB0_6:
	s_endpgm
	.section	.rodata,"a",@progbits
	.p2align	6, 0x0
	.amdhsa_kernel _ZL18get_batch_pointersPKfPfPS0_PS1_llmmmm
		.amdhsa_group_segment_fixed_size 0
		.amdhsa_private_segment_fixed_size 0
		.amdhsa_kernarg_size 336
		.amdhsa_user_sgpr_count 6
		.amdhsa_user_sgpr_private_segment_buffer 1
		.amdhsa_user_sgpr_dispatch_ptr 0
		.amdhsa_user_sgpr_queue_ptr 0
		.amdhsa_user_sgpr_kernarg_segment_ptr 1
		.amdhsa_user_sgpr_dispatch_id 0
		.amdhsa_user_sgpr_flat_scratch_init 0
		.amdhsa_user_sgpr_private_segment_size 0
		.amdhsa_wavefront_size32 1
		.amdhsa_uses_dynamic_stack 0
		.amdhsa_system_sgpr_private_segment_wavefront_offset 0
		.amdhsa_system_sgpr_workgroup_id_x 1
		.amdhsa_system_sgpr_workgroup_id_y 0
		.amdhsa_system_sgpr_workgroup_id_z 0
		.amdhsa_system_sgpr_workgroup_info 0
		.amdhsa_system_vgpr_workitem_id 0
		.amdhsa_next_free_vgpr 15
		.amdhsa_next_free_sgpr 31
		.amdhsa_reserve_vcc 1
		.amdhsa_reserve_flat_scratch 0
		.amdhsa_float_round_mode_32 0
		.amdhsa_float_round_mode_16_64 0
		.amdhsa_float_denorm_mode_32 3
		.amdhsa_float_denorm_mode_16_64 3
		.amdhsa_dx10_clamp 1
		.amdhsa_ieee_mode 1
		.amdhsa_fp16_overflow 0
		.amdhsa_workgroup_processor_mode 1
		.amdhsa_memory_ordered 1
		.amdhsa_forward_progress 1
		.amdhsa_shared_vgpr_count 0
		.amdhsa_exception_fp_ieee_invalid_op 0
		.amdhsa_exception_fp_denorm_src 0
		.amdhsa_exception_fp_ieee_div_zero 0
		.amdhsa_exception_fp_ieee_overflow 0
		.amdhsa_exception_fp_ieee_underflow 0
		.amdhsa_exception_fp_ieee_inexact 0
		.amdhsa_exception_int_div_zero 0
	.end_amdhsa_kernel
	.section	.text._ZL18get_batch_pointersPKfPfPS0_PS1_llmmmm,"axG",@progbits,_ZL18get_batch_pointersPKfPfPS0_PS1_llmmmm,comdat
.Lfunc_end0:
	.size	_ZL18get_batch_pointersPKfPfPS0_PS1_llmmmm, .Lfunc_end0-_ZL18get_batch_pointersPKfPfPS0_PS1_llmmmm
                                        ; -- End function
	.set _ZL18get_batch_pointersPKfPfPS0_PS1_llmmmm.num_vgpr, 15
	.set _ZL18get_batch_pointersPKfPfPS0_PS1_llmmmm.num_agpr, 0
	.set _ZL18get_batch_pointersPKfPfPS0_PS1_llmmmm.numbered_sgpr, 31
	.set _ZL18get_batch_pointersPKfPfPS0_PS1_llmmmm.num_named_barrier, 0
	.set _ZL18get_batch_pointersPKfPfPS0_PS1_llmmmm.private_seg_size, 0
	.set _ZL18get_batch_pointersPKfPfPS0_PS1_llmmmm.uses_vcc, 1
	.set _ZL18get_batch_pointersPKfPfPS0_PS1_llmmmm.uses_flat_scratch, 0
	.set _ZL18get_batch_pointersPKfPfPS0_PS1_llmmmm.has_dyn_sized_stack, 0
	.set _ZL18get_batch_pointersPKfPfPS0_PS1_llmmmm.has_recursion, 0
	.set _ZL18get_batch_pointersPKfPfPS0_PS1_llmmmm.has_indirect_call, 0
	.section	.AMDGPU.csdata,"",@progbits
; Kernel info:
; codeLenInByte = 1168
; TotalNumSgprs: 33
; NumVgprs: 15
; ScratchSize: 0
; MemoryBound: 0
; FloatMode: 240
; IeeeMode: 1
; LDSByteSize: 0 bytes/workgroup (compile time only)
; SGPRBlocks: 0
; VGPRBlocks: 1
; NumSGPRsForWavesPerEU: 33
; NumVGPRsForWavesPerEU: 15
; Occupancy: 16
; WaveLimiterHint : 0
; COMPUTE_PGM_RSRC2:SCRATCH_EN: 0
; COMPUTE_PGM_RSRC2:USER_SGPR: 6
; COMPUTE_PGM_RSRC2:TRAP_HANDLER: 0
; COMPUTE_PGM_RSRC2:TGID_X_EN: 1
; COMPUTE_PGM_RSRC2:TGID_Y_EN: 0
; COMPUTE_PGM_RSRC2:TGID_Z_EN: 0
; COMPUTE_PGM_RSRC2:TIDIG_COMP_CNT: 0
	.section	.text._ZL18solve_tri_f32_fastILi64ELi32EEvPKfS1_Pf15HIP_vector_typeIjLj3EEmmmmmmii,"axG",@progbits,_ZL18solve_tri_f32_fastILi64ELi32EEvPKfS1_Pf15HIP_vector_typeIjLj3EEmmmmmmii,comdat
	.globl	_ZL18solve_tri_f32_fastILi64ELi32EEvPKfS1_Pf15HIP_vector_typeIjLj3EEmmmmmmii ; -- Begin function _ZL18solve_tri_f32_fastILi64ELi32EEvPKfS1_Pf15HIP_vector_typeIjLj3EEmmmmmmii
	.p2align	8
	.type	_ZL18solve_tri_f32_fastILi64ELi32EEvPKfS1_Pf15HIP_vector_typeIjLj3EEmmmmmmii,@function
_ZL18solve_tri_f32_fastILi64ELi32EEvPKfS1_Pf15HIP_vector_typeIjLj3EEmmmmmmii: ; @_ZL18solve_tri_f32_fastILi64ELi32EEvPKfS1_Pf15HIP_vector_typeIjLj3EEmmmmmmii
; %bb.0:
	s_mov_b32 s0, exec_lo
	v_cmpx_gt_u32_e32 32, v1
	s_cbranch_execz .LBB1_269
; %bb.1:
	s_clause 0x3
	s_load_dwordx4 s[0:3], s[4:5], 0x18
	s_load_dwordx8 s[8:15], s[4:5], 0x28
	s_load_dwordx2 s[16:17], s[4:5], 0x0
	s_load_dword s7, s[4:5], 0x6c
	s_waitcnt lgkmcnt(0)
	s_mul_hi_u32 s0, s0, s6
	s_add_i32 s0, s6, s0
	s_lshr_b32 s67, s0, s1
	s_mul_i32 s0, s67, s2
	s_mul_i32 s3, s11, s67
	s_sub_i32 s72, s6, s0
	s_mul_hi_u32 s6, s10, s67
	s_mul_i32 s1, s9, s72
	s_mul_hi_u32 s2, s8, s72
	s_mul_i32 s0, s8, s72
	s_add_i32 s1, s2, s1
	s_mul_i32 s2, s10, s67
	s_lshl_b64 s[0:1], s[0:1], 2
	s_add_u32 s8, s16, s0
	s_addc_u32 s9, s17, s1
	s_add_i32 s3, s6, s3
	s_lshl_b64 s[0:1], s[2:3], 2
	s_add_u32 s0, s8, s0
	s_addc_u32 s1, s9, s1
	s_and_b32 s2, s7, 0xffff
	v_mad_u32_u24 v3, v1, s2, v0
	s_mov_b32 s2, exec_lo
	v_lshlrev_b32_e32 v2, 2, v3
	v_cmpx_gt_u32_e32 0x1000, v3
	s_cbranch_execz .LBB1_3
; %bb.2:
	global_load_dword v4, v2, s[0:1]
	s_waitcnt vmcnt(0)
	ds_write_b32 v2, v4
.LBB1_3:
	s_or_b32 exec_lo, exec_lo, s2
	s_load_dwordx4 s[68:71], s[4:5], 0x48
	s_mov_b32 s2, exec_lo
	v_cmpx_gt_u32_e32 0xc00, v3
	s_cbranch_execz .LBB1_5
; %bb.4:
	v_add_nc_u32_e32 v4, 0x1000, v2
	global_load_dword v4, v4, s[0:1]
	s_waitcnt vmcnt(0)
	ds_write_b32 v2, v4 offset:4096
.LBB1_5:
	s_or_b32 exec_lo, exec_lo, s2
	s_load_dwordx2 s[2:3], s[4:5], 0x8
	s_mov_b32 s6, exec_lo
	v_cmpx_gt_u32_e32 0x800, v3
	s_cbranch_execz .LBB1_7
; %bb.6:
	v_or_b32_e32 v4, 0x2000, v2
	global_load_dword v4, v4, s[0:1]
	s_waitcnt vmcnt(0)
	ds_write_b32 v2, v4 offset:8192
.LBB1_7:
	s_or_b32 exec_lo, exec_lo, s6
	s_mov_b32 s6, exec_lo
	v_cmpx_gt_u32_e32 0x400, v3
	s_cbranch_execz .LBB1_9
; %bb.8:
	v_or_b32_e32 v3, 0x3000, v2
	global_load_dword v3, v3, s[0:1]
	s_waitcnt vmcnt(0)
	ds_write_b32 v2, v3 offset:12288
.LBB1_9:
	s_or_b32 exec_lo, exec_lo, s6
	s_mul_i32 s0, s13, s72
	s_mul_hi_u32 s1, s12, s72
	s_mul_i32 s6, s15, s67
	s_add_i32 s1, s1, s0
	s_mul_i32 s0, s12, s72
	s_mul_hi_u32 s7, s14, s67
	s_lshl_b64 s[0:1], s[0:1], 2
	s_add_i32 s7, s7, s6
	s_mul_i32 s6, s14, s67
	s_waitcnt lgkmcnt(0)
	s_add_u32 s2, s2, s0
	s_addc_u32 s3, s3, s1
	s_lshl_b64 s[0:1], s[6:7], 2
	v_mov_b32_e32 v10, 0
	s_add_u32 s2, s2, s0
	v_cmp_gt_u32_e64 s0, 64, v0
	v_lshlrev_b32_e32 v1, 2, v1
	v_mov_b32_e32 v9, 0
	s_addc_u32 s3, s3, s1
	s_barrier
	buffer_gl0_inv
	s_and_saveexec_b32 s1, s0
	s_cbranch_execz .LBB1_11
; %bb.10:
	v_lshl_or_b32 v2, v0, 7, v1
	global_load_dword v9, v2, s[2:3]
.LBB1_11:
	s_or_b32 exec_lo, exec_lo, s1
	v_add_nc_u32_e32 v2, 32, v0
	v_cmp_gt_u32_e64 s1, 32, v0
	s_and_saveexec_b32 s6, s1
	s_cbranch_execz .LBB1_13
; %bb.12:
	v_lshl_or_b32 v3, v2, 7, v1
	global_load_dword v10, v3, s[2:3]
.LBB1_13:
	s_or_b32 exec_lo, exec_lo, s6
	v_cmp_eq_u32_e64 s2, 0, v0
	s_and_saveexec_b32 s3, s2
	s_cbranch_execz .LBB1_15
; %bb.14:
	v_mov_b32_e32 v3, 0
	ds_read_b32 v3, v3
	s_waitcnt vmcnt(0) lgkmcnt(0)
	v_div_scale_f32 v4, null, v3, v3, v9
	v_rcp_f32_e32 v5, v4
	v_fma_f32 v6, -v4, v5, 1.0
	v_fmac_f32_e32 v5, v6, v5
	v_div_scale_f32 v6, vcc_lo, v9, v3, v9
	v_mul_f32_e32 v7, v6, v5
	v_fma_f32 v8, -v4, v7, v6
	v_fmac_f32_e32 v7, v8, v5
	v_fma_f32 v4, -v4, v7, v6
	v_div_fmas_f32 v4, v4, v5, v7
	v_div_fixup_f32 v9, v4, v3, v9
.LBB1_15:
	s_or_b32 exec_lo, exec_lo, s3
	v_lshlrev_b32_e32 v3, 2, v0
	v_mov_b32_e32 v6, 0
	s_and_saveexec_b32 s3, s2
	s_cbranch_execz .LBB1_17
; %bb.16:
	ds_read_b32 v4, v3 offset:256
	s_waitcnt vmcnt(0) lgkmcnt(0)
	v_fma_f32 v6, v9, v4, 0
.LBB1_17:
	s_or_b32 exec_lo, exec_lo, s3
	v_mbcnt_lo_u32_b32 v8, -1, 0
	v_cmp_eq_u32_e64 s37, 1, v0
	v_xor_b32_e32 v4, 16, v8
	v_xor_b32_e32 v5, 8, v8
	;; [unrolled: 1-line block ×3, first 2 shown]
	v_cmp_gt_i32_e32 vcc_lo, 32, v4
	v_cndmask_b32_e32 v4, v8, v4, vcc_lo
	v_cmp_gt_i32_e32 vcc_lo, 32, v5
	v_lshlrev_b32_e32 v4, 2, v4
	v_cndmask_b32_e32 v5, v8, v5, vcc_lo
	ds_bpermute_b32 v7, v4, v6
	v_lshlrev_b32_e32 v5, 2, v5
	s_waitcnt lgkmcnt(0)
	v_add_f32_e32 v7, v6, v7
	v_xor_b32_e32 v6, 4, v8
	ds_bpermute_b32 v11, v5, v7
	v_cmp_gt_i32_e32 vcc_lo, 32, v6
	v_cndmask_b32_e32 v6, v8, v6, vcc_lo
	v_lshlrev_b32_e32 v6, 2, v6
	s_waitcnt lgkmcnt(0)
	v_add_f32_e32 v11, v7, v11
	v_xor_b32_e32 v7, 2, v8
	ds_bpermute_b32 v12, v6, v11
	v_cmp_gt_i32_e32 vcc_lo, 32, v7
	v_cndmask_b32_e32 v7, v8, v7, vcc_lo
	v_cmp_gt_i32_e32 vcc_lo, 32, v13
	v_lshlrev_b32_e32 v7, 2, v7
	v_cndmask_b32_e32 v8, v8, v13, vcc_lo
	v_lshlrev_b32_e32 v8, 2, v8
	s_waitcnt lgkmcnt(0)
	v_add_f32_e32 v11, v11, v12
	ds_bpermute_b32 v12, v7, v11
	s_waitcnt lgkmcnt(0)
	v_add_f32_e32 v11, v11, v12
	ds_bpermute_b32 v12, v8, v11
	s_and_saveexec_b32 s3, s37
	s_cbranch_execz .LBB1_19
; %bb.18:
	v_mov_b32_e32 v13, 0
	s_waitcnt lgkmcnt(0)
	v_add_f32_e32 v11, v11, v12
	ds_read_b32 v13, v13 offset:260
	s_waitcnt vmcnt(0)
	v_sub_f32_e32 v9, v9, v11
	s_waitcnt lgkmcnt(0)
	v_div_scale_f32 v11, null, v13, v13, v9
	v_rcp_f32_e32 v12, v11
	v_fma_f32 v14, -v11, v12, 1.0
	v_fmac_f32_e32 v12, v14, v12
	v_div_scale_f32 v14, vcc_lo, v9, v13, v9
	v_mul_f32_e32 v15, v14, v12
	v_fma_f32 v16, -v11, v15, v14
	v_fmac_f32_e32 v15, v16, v12
	v_fma_f32 v11, -v11, v15, v14
	v_div_fmas_f32 v11, v11, v12, v15
	v_div_fixup_f32 v9, v11, v13, v9
.LBB1_19:
	s_or_b32 exec_lo, exec_lo, s3
	v_cmp_gt_u32_e64 s7, 2, v0
	v_mov_b32_e32 v11, 0
	s_and_saveexec_b32 s3, s7
	s_cbranch_execz .LBB1_21
; %bb.20:
	ds_read_b32 v11, v3 offset:512
	s_waitcnt vmcnt(0) lgkmcnt(0)
	v_fma_f32 v11, v9, v11, 0
.LBB1_21:
	s_or_b32 exec_lo, exec_lo, s3
	s_waitcnt lgkmcnt(0)
	ds_bpermute_b32 v12, v4, v11
	v_cmp_eq_u32_e64 s38, 2, v0
	s_waitcnt lgkmcnt(0)
	v_add_f32_e32 v11, v11, v12
	ds_bpermute_b32 v12, v5, v11
	s_waitcnt lgkmcnt(0)
	v_add_f32_e32 v11, v11, v12
	ds_bpermute_b32 v12, v6, v11
	s_waitcnt lgkmcnt(0)
	v_add_f32_e32 v11, v11, v12
	ds_bpermute_b32 v12, v7, v11
	s_waitcnt lgkmcnt(0)
	v_add_f32_e32 v11, v11, v12
	ds_bpermute_b32 v12, v8, v11
	s_and_saveexec_b32 s3, s38
	s_cbranch_execz .LBB1_23
; %bb.22:
	v_mov_b32_e32 v13, 0
	s_waitcnt lgkmcnt(0)
	v_add_f32_e32 v11, v11, v12
	ds_read_b32 v13, v13 offset:520
	s_waitcnt vmcnt(0)
	v_sub_f32_e32 v9, v9, v11
	s_waitcnt lgkmcnt(0)
	v_div_scale_f32 v11, null, v13, v13, v9
	v_rcp_f32_e32 v12, v11
	v_fma_f32 v14, -v11, v12, 1.0
	v_fmac_f32_e32 v12, v14, v12
	v_div_scale_f32 v14, vcc_lo, v9, v13, v9
	v_mul_f32_e32 v15, v14, v12
	v_fma_f32 v16, -v11, v15, v14
	v_fmac_f32_e32 v15, v16, v12
	v_fma_f32 v11, -v11, v15, v14
	v_div_fmas_f32 v11, v11, v12, v15
	v_div_fixup_f32 v9, v11, v13, v9
.LBB1_23:
	s_or_b32 exec_lo, exec_lo, s3
	v_cmp_gt_u32_e64 s8, 3, v0
	v_mov_b32_e32 v11, 0
	s_and_saveexec_b32 s3, s8
	s_cbranch_execz .LBB1_25
; %bb.24:
	ds_read_b32 v11, v3 offset:768
	s_waitcnt vmcnt(0) lgkmcnt(0)
	v_fma_f32 v11, v9, v11, 0
.LBB1_25:
	s_or_b32 exec_lo, exec_lo, s3
	s_waitcnt lgkmcnt(0)
	ds_bpermute_b32 v12, v4, v11
	v_cmp_eq_u32_e64 s39, 3, v0
	s_waitcnt lgkmcnt(0)
	v_add_f32_e32 v11, v11, v12
	ds_bpermute_b32 v12, v5, v11
	s_waitcnt lgkmcnt(0)
	v_add_f32_e32 v11, v11, v12
	ds_bpermute_b32 v12, v6, v11
	;; [unrolled: 48-line block ×30, first 2 shown]
	s_waitcnt lgkmcnt(0)
	v_add_f32_e32 v11, v11, v12
	ds_bpermute_b32 v12, v7, v11
	s_waitcnt lgkmcnt(0)
	v_add_f32_e32 v11, v11, v12
	ds_bpermute_b32 v12, v8, v11
	s_and_saveexec_b32 s73, s6
	s_cbranch_execz .LBB1_139
; %bb.138:
	v_mov_b32_e32 v13, 0
	s_waitcnt lgkmcnt(0)
	v_add_f32_e32 v11, v11, v12
	ds_read_b32 v13, v13 offset:8060
	s_waitcnt vmcnt(0)
	v_sub_f32_e32 v9, v9, v11
	s_waitcnt lgkmcnt(0)
	v_div_scale_f32 v11, null, v13, v13, v9
	v_rcp_f32_e32 v12, v11
	v_fma_f32 v14, -v11, v12, 1.0
	v_fmac_f32_e32 v12, v14, v12
	v_div_scale_f32 v14, vcc_lo, v9, v13, v9
	v_mul_f32_e32 v15, v14, v12
	v_fma_f32 v16, -v11, v15, v14
	v_fmac_f32_e32 v15, v16, v12
	v_fma_f32 v11, -v11, v15, v14
	v_div_fmas_f32 v11, v11, v12, v15
	v_div_fixup_f32 v9, v11, v13, v9
.LBB1_139:
	s_or_b32 exec_lo, exec_lo, s73
	ds_read_b32 v11, v3 offset:8192
	s_waitcnt vmcnt(0) lgkmcnt(0)
	v_mul_f32_e32 v12, v9, v11
	ds_bpermute_b32 v12, v4, v12
	s_waitcnt lgkmcnt(0)
	v_fmac_f32_e32 v12, v9, v11
	ds_bpermute_b32 v11, v5, v12
	s_waitcnt lgkmcnt(0)
	v_add_f32_e32 v11, v12, v11
	ds_bpermute_b32 v12, v6, v11
	s_waitcnt lgkmcnt(0)
	v_add_f32_e32 v11, v11, v12
	ds_bpermute_b32 v12, v7, v11
	s_waitcnt lgkmcnt(0)
	v_add_f32_e32 v11, v11, v12
	ds_bpermute_b32 v12, v8, v11
	s_and_saveexec_b32 s73, s2
	s_cbranch_execz .LBB1_141
; %bb.140:
	v_mov_b32_e32 v13, 0
	s_waitcnt lgkmcnt(0)
	v_add_f32_e32 v11, v11, v12
	ds_read_b32 v13, v13 offset:8320
	v_sub_f32_e32 v10, v10, v11
	s_waitcnt lgkmcnt(0)
	v_div_scale_f32 v11, null, v13, v13, v10
	v_rcp_f32_e32 v12, v11
	v_fma_f32 v14, -v11, v12, 1.0
	v_fmac_f32_e32 v12, v14, v12
	v_div_scale_f32 v14, vcc_lo, v10, v13, v10
	v_mul_f32_e32 v15, v14, v12
	v_fma_f32 v16, -v11, v15, v14
	v_fmac_f32_e32 v15, v16, v12
	v_fma_f32 v11, -v11, v15, v14
	v_div_fmas_f32 v11, v11, v12, v15
	v_div_fixup_f32 v10, v11, v13, v10
.LBB1_141:
	s_or_b32 exec_lo, exec_lo, s73
	ds_read_b32 v11, v3 offset:8448
	s_waitcnt lgkmcnt(0)
	v_mul_f32_e32 v11, v9, v11
	s_and_saveexec_b32 s73, s2
	s_cbranch_execz .LBB1_143
; %bb.142:
	ds_read_b32 v12, v3 offset:8576
	s_waitcnt lgkmcnt(0)
	v_fmac_f32_e32 v11, v10, v12
.LBB1_143:
	s_or_b32 exec_lo, exec_lo, s73
	ds_bpermute_b32 v12, v4, v11
	s_waitcnt lgkmcnt(0)
	v_add_f32_e32 v11, v11, v12
	ds_bpermute_b32 v12, v5, v11
	s_waitcnt lgkmcnt(0)
	v_add_f32_e32 v11, v11, v12
	ds_bpermute_b32 v12, v6, v11
	s_waitcnt lgkmcnt(0)
	v_add_f32_e32 v11, v11, v12
	ds_bpermute_b32 v12, v7, v11
	s_waitcnt lgkmcnt(0)
	v_add_f32_e32 v11, v11, v12
	ds_bpermute_b32 v12, v8, v11
	s_and_saveexec_b32 s2, s37
	s_cbranch_execz .LBB1_145
; %bb.144:
	v_mov_b32_e32 v13, 0
	s_waitcnt lgkmcnt(0)
	v_add_f32_e32 v11, v11, v12
	ds_read_b32 v13, v13 offset:8580
	v_sub_f32_e32 v10, v10, v11
	s_waitcnt lgkmcnt(0)
	v_div_scale_f32 v11, null, v13, v13, v10
	v_rcp_f32_e32 v12, v11
	v_fma_f32 v14, -v11, v12, 1.0
	v_fmac_f32_e32 v12, v14, v12
	v_div_scale_f32 v14, vcc_lo, v10, v13, v10
	v_mul_f32_e32 v15, v14, v12
	v_fma_f32 v16, -v11, v15, v14
	v_fmac_f32_e32 v15, v16, v12
	v_fma_f32 v11, -v11, v15, v14
	v_div_fmas_f32 v11, v11, v12, v15
	v_div_fixup_f32 v10, v11, v13, v10
.LBB1_145:
	s_or_b32 exec_lo, exec_lo, s2
	ds_read_b32 v11, v3 offset:8704
	s_waitcnt lgkmcnt(0)
	v_mul_f32_e32 v11, v9, v11
	s_and_saveexec_b32 s2, s7
	s_cbranch_execz .LBB1_147
; %bb.146:
	ds_read_b32 v12, v3 offset:8832
	s_waitcnt lgkmcnt(0)
	v_fmac_f32_e32 v11, v10, v12
.LBB1_147:
	s_or_b32 exec_lo, exec_lo, s2
	ds_bpermute_b32 v12, v4, v11
	s_waitcnt lgkmcnt(0)
	v_add_f32_e32 v11, v11, v12
	;; [unrolled: 46-line block ×30, first 2 shown]
	ds_bpermute_b32 v12, v5, v11
	s_waitcnt lgkmcnt(0)
	v_add_f32_e32 v11, v11, v12
	ds_bpermute_b32 v12, v6, v11
	s_waitcnt lgkmcnt(0)
	v_add_f32_e32 v11, v11, v12
	;; [unrolled: 3-line block ×3, first 2 shown]
	ds_bpermute_b32 v12, v8, v11
	s_and_saveexec_b32 s2, s66
	s_cbranch_execz .LBB1_261
; %bb.260:
	v_mov_b32_e32 v13, 0
	s_waitcnt lgkmcnt(0)
	v_add_f32_e32 v11, v11, v12
	ds_read_b32 v13, v13 offset:16120
	v_sub_f32_e32 v10, v10, v11
	s_waitcnt lgkmcnt(0)
	v_div_scale_f32 v11, null, v13, v13, v10
	v_rcp_f32_e32 v12, v11
	v_fma_f32 v14, -v11, v12, 1.0
	v_fmac_f32_e32 v12, v14, v12
	v_div_scale_f32 v14, vcc_lo, v10, v13, v10
	v_mul_f32_e32 v15, v14, v12
	v_fma_f32 v16, -v11, v15, v14
	v_fmac_f32_e32 v15, v16, v12
	v_fma_f32 v11, -v11, v15, v14
	v_div_fmas_f32 v11, v11, v12, v15
	v_div_fixup_f32 v10, v11, v13, v10
.LBB1_261:
	s_or_b32 exec_lo, exec_lo, s2
	ds_read_b32 v11, v3 offset:16128
	s_load_dwordx2 s[4:5], s[4:5], 0x10
	s_waitcnt lgkmcnt(0)
	v_mul_f32_e32 v11, v9, v11
	s_and_saveexec_b32 s2, s3
	s_cbranch_execz .LBB1_263
; %bb.262:
	ds_read_b32 v3, v3 offset:16256
	s_waitcnt lgkmcnt(0)
	v_fmac_f32_e32 v11, v10, v3
.LBB1_263:
	s_or_b32 exec_lo, exec_lo, s2
	ds_bpermute_b32 v3, v4, v11
	s_waitcnt lgkmcnt(0)
	v_add_f32_e32 v3, v11, v3
	ds_bpermute_b32 v4, v5, v3
	s_waitcnt lgkmcnt(0)
	v_add_f32_e32 v3, v3, v4
	;; [unrolled: 3-line block ×4, first 2 shown]
	ds_bpermute_b32 v4, v8, v3
	s_and_saveexec_b32 s2, s6
	s_cbranch_execz .LBB1_265
; %bb.264:
	v_mov_b32_e32 v5, 0
	s_waitcnt lgkmcnt(0)
	v_add_f32_e32 v3, v3, v4
	ds_read_b32 v5, v5 offset:16380
	v_sub_f32_e32 v3, v10, v3
	s_waitcnt lgkmcnt(0)
	v_div_scale_f32 v4, null, v5, v5, v3
	v_rcp_f32_e32 v6, v4
	v_fma_f32 v7, -v4, v6, 1.0
	v_fmac_f32_e32 v6, v7, v6
	v_div_scale_f32 v7, vcc_lo, v3, v5, v3
	v_mul_f32_e32 v8, v7, v6
	v_fma_f32 v10, -v4, v8, v7
	v_fmac_f32_e32 v8, v10, v6
	v_fma_f32 v4, -v4, v8, v7
	v_div_fmas_f32 v4, v4, v6, v8
	v_div_fixup_f32 v10, v4, v5, v3
.LBB1_265:
	s_or_b32 exec_lo, exec_lo, s2
	s_mul_i32 s2, s69, s72
	s_mul_hi_u32 s3, s68, s72
	s_mul_i32 s6, s71, s67
	s_add_i32 s3, s3, s2
	s_mul_i32 s2, s68, s72
	s_mul_hi_u32 s7, s70, s67
	s_lshl_b64 s[2:3], s[2:3], 2
	s_add_i32 s7, s7, s6
	s_mul_i32 s6, s70, s67
	s_add_u32 s4, s4, s2
	s_addc_u32 s5, s5, s3
	s_lshl_b64 s[2:3], s[6:7], 2
	s_add_u32 s2, s4, s2
	s_addc_u32 s3, s5, s3
	s_and_saveexec_b32 s4, s0
	s_cbranch_execz .LBB1_267
; %bb.266:
	v_lshl_or_b32 v0, v0, 7, v1
	v_cndmask_b32_e64 v3, v10, v9, s1
	global_store_dword v0, v3, s[2:3]
.LBB1_267:
	s_or_b32 exec_lo, exec_lo, s4
	s_and_b32 exec_lo, exec_lo, s1
	s_cbranch_execz .LBB1_269
; %bb.268:
	v_lshl_or_b32 v0, v2, 7, v1
	global_store_dword v0, v10, s[2:3]
.LBB1_269:
	s_endpgm
	.section	.rodata,"a",@progbits
	.p2align	6, 0x0
	.amdhsa_kernel _ZL18solve_tri_f32_fastILi64ELi32EEvPKfS1_Pf15HIP_vector_typeIjLj3EEmmmmmmii
		.amdhsa_group_segment_fixed_size 16384
		.amdhsa_private_segment_fixed_size 0
		.amdhsa_kernarg_size 352
		.amdhsa_user_sgpr_count 6
		.amdhsa_user_sgpr_private_segment_buffer 1
		.amdhsa_user_sgpr_dispatch_ptr 0
		.amdhsa_user_sgpr_queue_ptr 0
		.amdhsa_user_sgpr_kernarg_segment_ptr 1
		.amdhsa_user_sgpr_dispatch_id 0
		.amdhsa_user_sgpr_flat_scratch_init 0
		.amdhsa_user_sgpr_private_segment_size 0
		.amdhsa_wavefront_size32 1
		.amdhsa_uses_dynamic_stack 0
		.amdhsa_system_sgpr_private_segment_wavefront_offset 0
		.amdhsa_system_sgpr_workgroup_id_x 1
		.amdhsa_system_sgpr_workgroup_id_y 0
		.amdhsa_system_sgpr_workgroup_id_z 0
		.amdhsa_system_sgpr_workgroup_info 0
		.amdhsa_system_vgpr_workitem_id 1
		.amdhsa_next_free_vgpr 17
		.amdhsa_next_free_sgpr 74
		.amdhsa_reserve_vcc 1
		.amdhsa_reserve_flat_scratch 0
		.amdhsa_float_round_mode_32 0
		.amdhsa_float_round_mode_16_64 0
		.amdhsa_float_denorm_mode_32 3
		.amdhsa_float_denorm_mode_16_64 3
		.amdhsa_dx10_clamp 1
		.amdhsa_ieee_mode 1
		.amdhsa_fp16_overflow 0
		.amdhsa_workgroup_processor_mode 1
		.amdhsa_memory_ordered 1
		.amdhsa_forward_progress 1
		.amdhsa_shared_vgpr_count 0
		.amdhsa_exception_fp_ieee_invalid_op 0
		.amdhsa_exception_fp_denorm_src 0
		.amdhsa_exception_fp_ieee_div_zero 0
		.amdhsa_exception_fp_ieee_overflow 0
		.amdhsa_exception_fp_ieee_underflow 0
		.amdhsa_exception_fp_ieee_inexact 0
		.amdhsa_exception_int_div_zero 0
	.end_amdhsa_kernel
	.section	.text._ZL18solve_tri_f32_fastILi64ELi32EEvPKfS1_Pf15HIP_vector_typeIjLj3EEmmmmmmii,"axG",@progbits,_ZL18solve_tri_f32_fastILi64ELi32EEvPKfS1_Pf15HIP_vector_typeIjLj3EEmmmmmmii,comdat
.Lfunc_end1:
	.size	_ZL18solve_tri_f32_fastILi64ELi32EEvPKfS1_Pf15HIP_vector_typeIjLj3EEmmmmmmii, .Lfunc_end1-_ZL18solve_tri_f32_fastILi64ELi32EEvPKfS1_Pf15HIP_vector_typeIjLj3EEmmmmmmii
                                        ; -- End function
	.set _ZL18solve_tri_f32_fastILi64ELi32EEvPKfS1_Pf15HIP_vector_typeIjLj3EEmmmmmmii.num_vgpr, 17
	.set _ZL18solve_tri_f32_fastILi64ELi32EEvPKfS1_Pf15HIP_vector_typeIjLj3EEmmmmmmii.num_agpr, 0
	.set _ZL18solve_tri_f32_fastILi64ELi32EEvPKfS1_Pf15HIP_vector_typeIjLj3EEmmmmmmii.numbered_sgpr, 74
	.set _ZL18solve_tri_f32_fastILi64ELi32EEvPKfS1_Pf15HIP_vector_typeIjLj3EEmmmmmmii.num_named_barrier, 0
	.set _ZL18solve_tri_f32_fastILi64ELi32EEvPKfS1_Pf15HIP_vector_typeIjLj3EEmmmmmmii.private_seg_size, 0
	.set _ZL18solve_tri_f32_fastILi64ELi32EEvPKfS1_Pf15HIP_vector_typeIjLj3EEmmmmmmii.uses_vcc, 1
	.set _ZL18solve_tri_f32_fastILi64ELi32EEvPKfS1_Pf15HIP_vector_typeIjLj3EEmmmmmmii.uses_flat_scratch, 0
	.set _ZL18solve_tri_f32_fastILi64ELi32EEvPKfS1_Pf15HIP_vector_typeIjLj3EEmmmmmmii.has_dyn_sized_stack, 0
	.set _ZL18solve_tri_f32_fastILi64ELi32EEvPKfS1_Pf15HIP_vector_typeIjLj3EEmmmmmmii.has_recursion, 0
	.set _ZL18solve_tri_f32_fastILi64ELi32EEvPKfS1_Pf15HIP_vector_typeIjLj3EEmmmmmmii.has_indirect_call, 0
	.section	.AMDGPU.csdata,"",@progbits
; Kernel info:
; codeLenInByte = 15656
; TotalNumSgprs: 76
; NumVgprs: 17
; ScratchSize: 0
; MemoryBound: 0
; FloatMode: 240
; IeeeMode: 1
; LDSByteSize: 16384 bytes/workgroup (compile time only)
; SGPRBlocks: 0
; VGPRBlocks: 2
; NumSGPRsForWavesPerEU: 76
; NumVGPRsForWavesPerEU: 17
; Occupancy: 16
; WaveLimiterHint : 0
; COMPUTE_PGM_RSRC2:SCRATCH_EN: 0
; COMPUTE_PGM_RSRC2:USER_SGPR: 6
; COMPUTE_PGM_RSRC2:TRAP_HANDLER: 0
; COMPUTE_PGM_RSRC2:TGID_X_EN: 1
; COMPUTE_PGM_RSRC2:TGID_Y_EN: 0
; COMPUTE_PGM_RSRC2:TGID_Z_EN: 0
; COMPUTE_PGM_RSRC2:TIDIG_COMP_CNT: 1
	.section	.text._ZL18solve_tri_f32_fastILi64ELi16EEvPKfS1_Pf15HIP_vector_typeIjLj3EEmmmmmmii,"axG",@progbits,_ZL18solve_tri_f32_fastILi64ELi16EEvPKfS1_Pf15HIP_vector_typeIjLj3EEmmmmmmii,comdat
	.globl	_ZL18solve_tri_f32_fastILi64ELi16EEvPKfS1_Pf15HIP_vector_typeIjLj3EEmmmmmmii ; -- Begin function _ZL18solve_tri_f32_fastILi64ELi16EEvPKfS1_Pf15HIP_vector_typeIjLj3EEmmmmmmii
	.p2align	8
	.type	_ZL18solve_tri_f32_fastILi64ELi16EEvPKfS1_Pf15HIP_vector_typeIjLj3EEmmmmmmii,@function
_ZL18solve_tri_f32_fastILi64ELi16EEvPKfS1_Pf15HIP_vector_typeIjLj3EEmmmmmmii: ; @_ZL18solve_tri_f32_fastILi64ELi16EEvPKfS1_Pf15HIP_vector_typeIjLj3EEmmmmmmii
; %bb.0:
	s_mov_b32 s0, exec_lo
	v_cmpx_gt_u32_e32 16, v1
	s_cbranch_execz .LBB2_277
; %bb.1:
	s_clause 0x3
	s_load_dwordx4 s[0:3], s[4:5], 0x18
	s_load_dwordx8 s[8:15], s[4:5], 0x28
	s_load_dwordx2 s[16:17], s[4:5], 0x0
	s_load_dword s7, s[4:5], 0x6c
	s_waitcnt lgkmcnt(0)
	s_mul_hi_u32 s0, s0, s6
	s_add_i32 s0, s6, s0
	s_lshr_b32 s67, s0, s1
	s_mul_i32 s0, s67, s2
	s_mul_i32 s3, s11, s67
	s_sub_i32 s72, s6, s0
	s_mul_hi_u32 s6, s10, s67
	s_mul_i32 s1, s9, s72
	s_mul_hi_u32 s2, s8, s72
	s_mul_i32 s0, s8, s72
	s_add_i32 s1, s2, s1
	s_mul_i32 s2, s10, s67
	s_lshl_b64 s[0:1], s[0:1], 2
	s_add_u32 s8, s16, s0
	s_addc_u32 s9, s17, s1
	s_add_i32 s3, s6, s3
	s_lshl_b64 s[0:1], s[2:3], 2
	s_add_u32 s0, s8, s0
	s_addc_u32 s1, s9, s1
	s_and_b32 s2, s7, 0xffff
	v_mad_u32_u24 v3, v1, s2, v0
	s_mov_b32 s2, exec_lo
	v_lshlrev_b32_e32 v2, 2, v3
	v_cmpx_gt_u32_e32 0x1000, v3
	s_cbranch_execz .LBB2_3
; %bb.2:
	global_load_dword v4, v2, s[0:1]
	s_waitcnt vmcnt(0)
	ds_write_b32 v2, v4
.LBB2_3:
	s_or_b32 exec_lo, exec_lo, s2
	s_mov_b32 s2, exec_lo
	v_cmpx_gt_u32_e32 0xe00, v3
	s_cbranch_execz .LBB2_5
; %bb.4:
	v_add_nc_u32_e32 v4, 0x800, v2
	global_load_dword v4, v4, s[0:1]
	s_waitcnt vmcnt(0)
	ds_write_b32 v2, v4 offset:2048
.LBB2_5:
	s_or_b32 exec_lo, exec_lo, s2
	s_mov_b32 s2, exec_lo
	v_cmpx_gt_u32_e32 0xc00, v3
	s_cbranch_execz .LBB2_7
; %bb.6:
	v_add_nc_u32_e32 v4, 0x1000, v2
	global_load_dword v4, v4, s[0:1]
	s_waitcnt vmcnt(0)
	ds_write_b32 v2, v4 offset:4096
.LBB2_7:
	;; [unrolled: 10-line block ×3, first 2 shown]
	s_or_b32 exec_lo, exec_lo, s2
	s_mov_b32 s2, exec_lo
	v_cmpx_gt_u32_e32 0x800, v3
	s_cbranch_execz .LBB2_11
; %bb.10:
	v_or_b32_e32 v4, 0x2000, v2
	global_load_dword v4, v4, s[0:1]
	s_waitcnt vmcnt(0)
	ds_write_b32 v2, v4 offset:8192
.LBB2_11:
	s_or_b32 exec_lo, exec_lo, s2
	s_load_dwordx4 s[68:71], s[4:5], 0x48
	s_mov_b32 s2, exec_lo
	v_cmpx_gt_u32_e32 0x600, v3
	s_cbranch_execz .LBB2_13
; %bb.12:
	v_add_nc_u32_e32 v4, 0x2800, v2
	global_load_dword v4, v4, s[0:1]
	s_waitcnt vmcnt(0)
	ds_write_b32 v2, v4 offset:10240
.LBB2_13:
	s_or_b32 exec_lo, exec_lo, s2
	s_load_dwordx2 s[2:3], s[4:5], 0x8
	s_mov_b32 s6, exec_lo
	v_cmpx_gt_u32_e32 0x400, v3
	s_cbranch_execz .LBB2_15
; %bb.14:
	v_or_b32_e32 v4, 0x3000, v2
	global_load_dword v4, v4, s[0:1]
	s_waitcnt vmcnt(0)
	ds_write_b32 v2, v4 offset:12288
.LBB2_15:
	s_or_b32 exec_lo, exec_lo, s6
	s_mov_b32 s6, exec_lo
	v_cmpx_gt_u32_e32 0x200, v3
	s_cbranch_execz .LBB2_17
; %bb.16:
	v_or_b32_e32 v3, 0x3800, v2
	global_load_dword v3, v3, s[0:1]
	s_waitcnt vmcnt(0)
	ds_write_b32 v2, v3 offset:14336
.LBB2_17:
	s_or_b32 exec_lo, exec_lo, s6
	s_mul_i32 s0, s13, s72
	s_mul_hi_u32 s1, s12, s72
	s_mul_i32 s6, s15, s67
	s_add_i32 s1, s1, s0
	s_mul_i32 s0, s12, s72
	s_mul_hi_u32 s7, s14, s67
	s_lshl_b64 s[0:1], s[0:1], 2
	s_add_i32 s7, s7, s6
	s_mul_i32 s6, s14, s67
	s_waitcnt lgkmcnt(0)
	s_add_u32 s2, s2, s0
	s_addc_u32 s3, s3, s1
	s_lshl_b64 s[0:1], s[6:7], 2
	v_mov_b32_e32 v10, 0
	s_add_u32 s2, s2, s0
	v_cmp_gt_u32_e64 s0, 64, v0
	v_lshlrev_b32_e32 v1, 2, v1
	v_mov_b32_e32 v9, 0
	s_addc_u32 s3, s3, s1
	s_barrier
	buffer_gl0_inv
	s_and_saveexec_b32 s1, s0
	s_cbranch_execz .LBB2_19
; %bb.18:
	v_lshl_or_b32 v2, v0, 6, v1
	global_load_dword v9, v2, s[2:3]
.LBB2_19:
	s_or_b32 exec_lo, exec_lo, s1
	v_add_nc_u32_e32 v2, 32, v0
	v_cmp_gt_u32_e64 s1, 32, v0
	s_and_saveexec_b32 s6, s1
	s_cbranch_execz .LBB2_21
; %bb.20:
	v_lshl_or_b32 v3, v2, 6, v1
	global_load_dword v10, v3, s[2:3]
.LBB2_21:
	s_or_b32 exec_lo, exec_lo, s6
	v_cmp_eq_u32_e64 s2, 0, v0
	s_and_saveexec_b32 s3, s2
	s_cbranch_execz .LBB2_23
; %bb.22:
	v_mov_b32_e32 v3, 0
	ds_read_b32 v3, v3
	s_waitcnt vmcnt(0) lgkmcnt(0)
	v_div_scale_f32 v4, null, v3, v3, v9
	v_rcp_f32_e32 v5, v4
	v_fma_f32 v6, -v4, v5, 1.0
	v_fmac_f32_e32 v5, v6, v5
	v_div_scale_f32 v6, vcc_lo, v9, v3, v9
	v_mul_f32_e32 v7, v6, v5
	v_fma_f32 v8, -v4, v7, v6
	v_fmac_f32_e32 v7, v8, v5
	v_fma_f32 v4, -v4, v7, v6
	v_div_fmas_f32 v4, v4, v5, v7
	v_div_fixup_f32 v9, v4, v3, v9
.LBB2_23:
	s_or_b32 exec_lo, exec_lo, s3
	v_lshlrev_b32_e32 v3, 2, v0
	v_mov_b32_e32 v6, 0
	s_and_saveexec_b32 s3, s2
	s_cbranch_execz .LBB2_25
; %bb.24:
	ds_read_b32 v4, v3 offset:256
	s_waitcnt vmcnt(0) lgkmcnt(0)
	v_fma_f32 v6, v9, v4, 0
.LBB2_25:
	s_or_b32 exec_lo, exec_lo, s3
	v_mbcnt_lo_u32_b32 v8, -1, 0
	v_cmp_eq_u32_e64 s37, 1, v0
	v_xor_b32_e32 v4, 16, v8
	v_xor_b32_e32 v5, 8, v8
	;; [unrolled: 1-line block ×3, first 2 shown]
	v_cmp_gt_i32_e32 vcc_lo, 32, v4
	v_cndmask_b32_e32 v4, v8, v4, vcc_lo
	v_cmp_gt_i32_e32 vcc_lo, 32, v5
	v_lshlrev_b32_e32 v4, 2, v4
	v_cndmask_b32_e32 v5, v8, v5, vcc_lo
	ds_bpermute_b32 v7, v4, v6
	v_lshlrev_b32_e32 v5, 2, v5
	s_waitcnt lgkmcnt(0)
	v_add_f32_e32 v7, v6, v7
	v_xor_b32_e32 v6, 4, v8
	ds_bpermute_b32 v11, v5, v7
	v_cmp_gt_i32_e32 vcc_lo, 32, v6
	v_cndmask_b32_e32 v6, v8, v6, vcc_lo
	v_lshlrev_b32_e32 v6, 2, v6
	s_waitcnt lgkmcnt(0)
	v_add_f32_e32 v11, v7, v11
	v_xor_b32_e32 v7, 2, v8
	ds_bpermute_b32 v12, v6, v11
	v_cmp_gt_i32_e32 vcc_lo, 32, v7
	v_cndmask_b32_e32 v7, v8, v7, vcc_lo
	v_cmp_gt_i32_e32 vcc_lo, 32, v13
	v_lshlrev_b32_e32 v7, 2, v7
	v_cndmask_b32_e32 v8, v8, v13, vcc_lo
	v_lshlrev_b32_e32 v8, 2, v8
	s_waitcnt lgkmcnt(0)
	v_add_f32_e32 v11, v11, v12
	ds_bpermute_b32 v12, v7, v11
	s_waitcnt lgkmcnt(0)
	v_add_f32_e32 v11, v11, v12
	ds_bpermute_b32 v12, v8, v11
	s_and_saveexec_b32 s3, s37
	s_cbranch_execz .LBB2_27
; %bb.26:
	v_mov_b32_e32 v13, 0
	s_waitcnt lgkmcnt(0)
	v_add_f32_e32 v11, v11, v12
	ds_read_b32 v13, v13 offset:260
	s_waitcnt vmcnt(0)
	v_sub_f32_e32 v9, v9, v11
	s_waitcnt lgkmcnt(0)
	v_div_scale_f32 v11, null, v13, v13, v9
	v_rcp_f32_e32 v12, v11
	v_fma_f32 v14, -v11, v12, 1.0
	v_fmac_f32_e32 v12, v14, v12
	v_div_scale_f32 v14, vcc_lo, v9, v13, v9
	v_mul_f32_e32 v15, v14, v12
	v_fma_f32 v16, -v11, v15, v14
	v_fmac_f32_e32 v15, v16, v12
	v_fma_f32 v11, -v11, v15, v14
	v_div_fmas_f32 v11, v11, v12, v15
	v_div_fixup_f32 v9, v11, v13, v9
.LBB2_27:
	s_or_b32 exec_lo, exec_lo, s3
	v_cmp_gt_u32_e64 s7, 2, v0
	v_mov_b32_e32 v11, 0
	s_and_saveexec_b32 s3, s7
	s_cbranch_execz .LBB2_29
; %bb.28:
	ds_read_b32 v11, v3 offset:512
	s_waitcnt vmcnt(0) lgkmcnt(0)
	v_fma_f32 v11, v9, v11, 0
.LBB2_29:
	s_or_b32 exec_lo, exec_lo, s3
	s_waitcnt lgkmcnt(0)
	ds_bpermute_b32 v12, v4, v11
	v_cmp_eq_u32_e64 s38, 2, v0
	s_waitcnt lgkmcnt(0)
	v_add_f32_e32 v11, v11, v12
	ds_bpermute_b32 v12, v5, v11
	s_waitcnt lgkmcnt(0)
	v_add_f32_e32 v11, v11, v12
	ds_bpermute_b32 v12, v6, v11
	s_waitcnt lgkmcnt(0)
	v_add_f32_e32 v11, v11, v12
	ds_bpermute_b32 v12, v7, v11
	s_waitcnt lgkmcnt(0)
	v_add_f32_e32 v11, v11, v12
	ds_bpermute_b32 v12, v8, v11
	s_and_saveexec_b32 s3, s38
	s_cbranch_execz .LBB2_31
; %bb.30:
	v_mov_b32_e32 v13, 0
	s_waitcnt lgkmcnt(0)
	v_add_f32_e32 v11, v11, v12
	ds_read_b32 v13, v13 offset:520
	s_waitcnt vmcnt(0)
	v_sub_f32_e32 v9, v9, v11
	s_waitcnt lgkmcnt(0)
	v_div_scale_f32 v11, null, v13, v13, v9
	v_rcp_f32_e32 v12, v11
	v_fma_f32 v14, -v11, v12, 1.0
	v_fmac_f32_e32 v12, v14, v12
	v_div_scale_f32 v14, vcc_lo, v9, v13, v9
	v_mul_f32_e32 v15, v14, v12
	v_fma_f32 v16, -v11, v15, v14
	v_fmac_f32_e32 v15, v16, v12
	v_fma_f32 v11, -v11, v15, v14
	v_div_fmas_f32 v11, v11, v12, v15
	v_div_fixup_f32 v9, v11, v13, v9
.LBB2_31:
	s_or_b32 exec_lo, exec_lo, s3
	v_cmp_gt_u32_e64 s8, 3, v0
	v_mov_b32_e32 v11, 0
	s_and_saveexec_b32 s3, s8
	s_cbranch_execz .LBB2_33
; %bb.32:
	ds_read_b32 v11, v3 offset:768
	s_waitcnt vmcnt(0) lgkmcnt(0)
	v_fma_f32 v11, v9, v11, 0
.LBB2_33:
	s_or_b32 exec_lo, exec_lo, s3
	s_waitcnt lgkmcnt(0)
	ds_bpermute_b32 v12, v4, v11
	v_cmp_eq_u32_e64 s39, 3, v0
	s_waitcnt lgkmcnt(0)
	v_add_f32_e32 v11, v11, v12
	ds_bpermute_b32 v12, v5, v11
	s_waitcnt lgkmcnt(0)
	v_add_f32_e32 v11, v11, v12
	ds_bpermute_b32 v12, v6, v11
	;; [unrolled: 48-line block ×30, first 2 shown]
	s_waitcnt lgkmcnt(0)
	v_add_f32_e32 v11, v11, v12
	ds_bpermute_b32 v12, v7, v11
	s_waitcnt lgkmcnt(0)
	v_add_f32_e32 v11, v11, v12
	ds_bpermute_b32 v12, v8, v11
	s_and_saveexec_b32 s73, s6
	s_cbranch_execz .LBB2_147
; %bb.146:
	v_mov_b32_e32 v13, 0
	s_waitcnt lgkmcnt(0)
	v_add_f32_e32 v11, v11, v12
	ds_read_b32 v13, v13 offset:8060
	s_waitcnt vmcnt(0)
	v_sub_f32_e32 v9, v9, v11
	s_waitcnt lgkmcnt(0)
	v_div_scale_f32 v11, null, v13, v13, v9
	v_rcp_f32_e32 v12, v11
	v_fma_f32 v14, -v11, v12, 1.0
	v_fmac_f32_e32 v12, v14, v12
	v_div_scale_f32 v14, vcc_lo, v9, v13, v9
	v_mul_f32_e32 v15, v14, v12
	v_fma_f32 v16, -v11, v15, v14
	v_fmac_f32_e32 v15, v16, v12
	v_fma_f32 v11, -v11, v15, v14
	v_div_fmas_f32 v11, v11, v12, v15
	v_div_fixup_f32 v9, v11, v13, v9
.LBB2_147:
	s_or_b32 exec_lo, exec_lo, s73
	ds_read_b32 v11, v3 offset:8192
	s_waitcnt vmcnt(0) lgkmcnt(0)
	v_mul_f32_e32 v12, v9, v11
	ds_bpermute_b32 v12, v4, v12
	s_waitcnt lgkmcnt(0)
	v_fmac_f32_e32 v12, v9, v11
	ds_bpermute_b32 v11, v5, v12
	s_waitcnt lgkmcnt(0)
	v_add_f32_e32 v11, v12, v11
	ds_bpermute_b32 v12, v6, v11
	s_waitcnt lgkmcnt(0)
	v_add_f32_e32 v11, v11, v12
	ds_bpermute_b32 v12, v7, v11
	s_waitcnt lgkmcnt(0)
	v_add_f32_e32 v11, v11, v12
	ds_bpermute_b32 v12, v8, v11
	s_and_saveexec_b32 s73, s2
	s_cbranch_execz .LBB2_149
; %bb.148:
	v_mov_b32_e32 v13, 0
	s_waitcnt lgkmcnt(0)
	v_add_f32_e32 v11, v11, v12
	ds_read_b32 v13, v13 offset:8320
	v_sub_f32_e32 v10, v10, v11
	s_waitcnt lgkmcnt(0)
	v_div_scale_f32 v11, null, v13, v13, v10
	v_rcp_f32_e32 v12, v11
	v_fma_f32 v14, -v11, v12, 1.0
	v_fmac_f32_e32 v12, v14, v12
	v_div_scale_f32 v14, vcc_lo, v10, v13, v10
	v_mul_f32_e32 v15, v14, v12
	v_fma_f32 v16, -v11, v15, v14
	v_fmac_f32_e32 v15, v16, v12
	v_fma_f32 v11, -v11, v15, v14
	v_div_fmas_f32 v11, v11, v12, v15
	v_div_fixup_f32 v10, v11, v13, v10
.LBB2_149:
	s_or_b32 exec_lo, exec_lo, s73
	ds_read_b32 v11, v3 offset:8448
	s_waitcnt lgkmcnt(0)
	v_mul_f32_e32 v11, v9, v11
	s_and_saveexec_b32 s73, s2
	s_cbranch_execz .LBB2_151
; %bb.150:
	ds_read_b32 v12, v3 offset:8576
	s_waitcnt lgkmcnt(0)
	v_fmac_f32_e32 v11, v10, v12
.LBB2_151:
	s_or_b32 exec_lo, exec_lo, s73
	ds_bpermute_b32 v12, v4, v11
	s_waitcnt lgkmcnt(0)
	v_add_f32_e32 v11, v11, v12
	ds_bpermute_b32 v12, v5, v11
	s_waitcnt lgkmcnt(0)
	v_add_f32_e32 v11, v11, v12
	ds_bpermute_b32 v12, v6, v11
	s_waitcnt lgkmcnt(0)
	v_add_f32_e32 v11, v11, v12
	ds_bpermute_b32 v12, v7, v11
	s_waitcnt lgkmcnt(0)
	v_add_f32_e32 v11, v11, v12
	ds_bpermute_b32 v12, v8, v11
	s_and_saveexec_b32 s2, s37
	s_cbranch_execz .LBB2_153
; %bb.152:
	v_mov_b32_e32 v13, 0
	s_waitcnt lgkmcnt(0)
	v_add_f32_e32 v11, v11, v12
	ds_read_b32 v13, v13 offset:8580
	v_sub_f32_e32 v10, v10, v11
	s_waitcnt lgkmcnt(0)
	v_div_scale_f32 v11, null, v13, v13, v10
	v_rcp_f32_e32 v12, v11
	v_fma_f32 v14, -v11, v12, 1.0
	v_fmac_f32_e32 v12, v14, v12
	v_div_scale_f32 v14, vcc_lo, v10, v13, v10
	v_mul_f32_e32 v15, v14, v12
	v_fma_f32 v16, -v11, v15, v14
	v_fmac_f32_e32 v15, v16, v12
	v_fma_f32 v11, -v11, v15, v14
	v_div_fmas_f32 v11, v11, v12, v15
	v_div_fixup_f32 v10, v11, v13, v10
.LBB2_153:
	s_or_b32 exec_lo, exec_lo, s2
	ds_read_b32 v11, v3 offset:8704
	s_waitcnt lgkmcnt(0)
	v_mul_f32_e32 v11, v9, v11
	s_and_saveexec_b32 s2, s7
	s_cbranch_execz .LBB2_155
; %bb.154:
	ds_read_b32 v12, v3 offset:8832
	s_waitcnt lgkmcnt(0)
	v_fmac_f32_e32 v11, v10, v12
.LBB2_155:
	s_or_b32 exec_lo, exec_lo, s2
	ds_bpermute_b32 v12, v4, v11
	s_waitcnt lgkmcnt(0)
	v_add_f32_e32 v11, v11, v12
	;; [unrolled: 46-line block ×30, first 2 shown]
	ds_bpermute_b32 v12, v5, v11
	s_waitcnt lgkmcnt(0)
	v_add_f32_e32 v11, v11, v12
	ds_bpermute_b32 v12, v6, v11
	s_waitcnt lgkmcnt(0)
	v_add_f32_e32 v11, v11, v12
	;; [unrolled: 3-line block ×3, first 2 shown]
	ds_bpermute_b32 v12, v8, v11
	s_and_saveexec_b32 s2, s66
	s_cbranch_execz .LBB2_269
; %bb.268:
	v_mov_b32_e32 v13, 0
	s_waitcnt lgkmcnt(0)
	v_add_f32_e32 v11, v11, v12
	ds_read_b32 v13, v13 offset:16120
	v_sub_f32_e32 v10, v10, v11
	s_waitcnt lgkmcnt(0)
	v_div_scale_f32 v11, null, v13, v13, v10
	v_rcp_f32_e32 v12, v11
	v_fma_f32 v14, -v11, v12, 1.0
	v_fmac_f32_e32 v12, v14, v12
	v_div_scale_f32 v14, vcc_lo, v10, v13, v10
	v_mul_f32_e32 v15, v14, v12
	v_fma_f32 v16, -v11, v15, v14
	v_fmac_f32_e32 v15, v16, v12
	v_fma_f32 v11, -v11, v15, v14
	v_div_fmas_f32 v11, v11, v12, v15
	v_div_fixup_f32 v10, v11, v13, v10
.LBB2_269:
	s_or_b32 exec_lo, exec_lo, s2
	ds_read_b32 v11, v3 offset:16128
	s_load_dwordx2 s[4:5], s[4:5], 0x10
	s_waitcnt lgkmcnt(0)
	v_mul_f32_e32 v11, v9, v11
	s_and_saveexec_b32 s2, s3
	s_cbranch_execz .LBB2_271
; %bb.270:
	ds_read_b32 v3, v3 offset:16256
	s_waitcnt lgkmcnt(0)
	v_fmac_f32_e32 v11, v10, v3
.LBB2_271:
	s_or_b32 exec_lo, exec_lo, s2
	ds_bpermute_b32 v3, v4, v11
	s_waitcnt lgkmcnt(0)
	v_add_f32_e32 v3, v11, v3
	ds_bpermute_b32 v4, v5, v3
	s_waitcnt lgkmcnt(0)
	v_add_f32_e32 v3, v3, v4
	;; [unrolled: 3-line block ×4, first 2 shown]
	ds_bpermute_b32 v4, v8, v3
	s_and_saveexec_b32 s2, s6
	s_cbranch_execz .LBB2_273
; %bb.272:
	v_mov_b32_e32 v5, 0
	s_waitcnt lgkmcnt(0)
	v_add_f32_e32 v3, v3, v4
	ds_read_b32 v5, v5 offset:16380
	v_sub_f32_e32 v3, v10, v3
	s_waitcnt lgkmcnt(0)
	v_div_scale_f32 v4, null, v5, v5, v3
	v_rcp_f32_e32 v6, v4
	v_fma_f32 v7, -v4, v6, 1.0
	v_fmac_f32_e32 v6, v7, v6
	v_div_scale_f32 v7, vcc_lo, v3, v5, v3
	v_mul_f32_e32 v8, v7, v6
	v_fma_f32 v10, -v4, v8, v7
	v_fmac_f32_e32 v8, v10, v6
	v_fma_f32 v4, -v4, v8, v7
	v_div_fmas_f32 v4, v4, v6, v8
	v_div_fixup_f32 v10, v4, v5, v3
.LBB2_273:
	s_or_b32 exec_lo, exec_lo, s2
	s_mul_i32 s2, s69, s72
	s_mul_hi_u32 s3, s68, s72
	s_mul_i32 s6, s71, s67
	s_add_i32 s3, s3, s2
	s_mul_i32 s2, s68, s72
	s_mul_hi_u32 s7, s70, s67
	s_lshl_b64 s[2:3], s[2:3], 2
	s_add_i32 s7, s7, s6
	s_mul_i32 s6, s70, s67
	s_add_u32 s4, s4, s2
	s_addc_u32 s5, s5, s3
	s_lshl_b64 s[2:3], s[6:7], 2
	s_add_u32 s2, s4, s2
	s_addc_u32 s3, s5, s3
	s_and_saveexec_b32 s4, s0
	s_cbranch_execz .LBB2_275
; %bb.274:
	v_lshl_or_b32 v0, v0, 6, v1
	v_cndmask_b32_e64 v3, v10, v9, s1
	global_store_dword v0, v3, s[2:3]
.LBB2_275:
	s_or_b32 exec_lo, exec_lo, s4
	s_and_b32 exec_lo, exec_lo, s1
	s_cbranch_execz .LBB2_277
; %bb.276:
	v_lshl_or_b32 v0, v2, 6, v1
	global_store_dword v0, v10, s[2:3]
.LBB2_277:
	s_endpgm
	.section	.rodata,"a",@progbits
	.p2align	6, 0x0
	.amdhsa_kernel _ZL18solve_tri_f32_fastILi64ELi16EEvPKfS1_Pf15HIP_vector_typeIjLj3EEmmmmmmii
		.amdhsa_group_segment_fixed_size 16384
		.amdhsa_private_segment_fixed_size 0
		.amdhsa_kernarg_size 352
		.amdhsa_user_sgpr_count 6
		.amdhsa_user_sgpr_private_segment_buffer 1
		.amdhsa_user_sgpr_dispatch_ptr 0
		.amdhsa_user_sgpr_queue_ptr 0
		.amdhsa_user_sgpr_kernarg_segment_ptr 1
		.amdhsa_user_sgpr_dispatch_id 0
		.amdhsa_user_sgpr_flat_scratch_init 0
		.amdhsa_user_sgpr_private_segment_size 0
		.amdhsa_wavefront_size32 1
		.amdhsa_uses_dynamic_stack 0
		.amdhsa_system_sgpr_private_segment_wavefront_offset 0
		.amdhsa_system_sgpr_workgroup_id_x 1
		.amdhsa_system_sgpr_workgroup_id_y 0
		.amdhsa_system_sgpr_workgroup_id_z 0
		.amdhsa_system_sgpr_workgroup_info 0
		.amdhsa_system_vgpr_workitem_id 1
		.amdhsa_next_free_vgpr 17
		.amdhsa_next_free_sgpr 74
		.amdhsa_reserve_vcc 1
		.amdhsa_reserve_flat_scratch 0
		.amdhsa_float_round_mode_32 0
		.amdhsa_float_round_mode_16_64 0
		.amdhsa_float_denorm_mode_32 3
		.amdhsa_float_denorm_mode_16_64 3
		.amdhsa_dx10_clamp 1
		.amdhsa_ieee_mode 1
		.amdhsa_fp16_overflow 0
		.amdhsa_workgroup_processor_mode 1
		.amdhsa_memory_ordered 1
		.amdhsa_forward_progress 1
		.amdhsa_shared_vgpr_count 0
		.amdhsa_exception_fp_ieee_invalid_op 0
		.amdhsa_exception_fp_denorm_src 0
		.amdhsa_exception_fp_ieee_div_zero 0
		.amdhsa_exception_fp_ieee_overflow 0
		.amdhsa_exception_fp_ieee_underflow 0
		.amdhsa_exception_fp_ieee_inexact 0
		.amdhsa_exception_int_div_zero 0
	.end_amdhsa_kernel
	.section	.text._ZL18solve_tri_f32_fastILi64ELi16EEvPKfS1_Pf15HIP_vector_typeIjLj3EEmmmmmmii,"axG",@progbits,_ZL18solve_tri_f32_fastILi64ELi16EEvPKfS1_Pf15HIP_vector_typeIjLj3EEmmmmmmii,comdat
.Lfunc_end2:
	.size	_ZL18solve_tri_f32_fastILi64ELi16EEvPKfS1_Pf15HIP_vector_typeIjLj3EEmmmmmmii, .Lfunc_end2-_ZL18solve_tri_f32_fastILi64ELi16EEvPKfS1_Pf15HIP_vector_typeIjLj3EEmmmmmmii
                                        ; -- End function
	.set _ZL18solve_tri_f32_fastILi64ELi16EEvPKfS1_Pf15HIP_vector_typeIjLj3EEmmmmmmii.num_vgpr, 17
	.set _ZL18solve_tri_f32_fastILi64ELi16EEvPKfS1_Pf15HIP_vector_typeIjLj3EEmmmmmmii.num_agpr, 0
	.set _ZL18solve_tri_f32_fastILi64ELi16EEvPKfS1_Pf15HIP_vector_typeIjLj3EEmmmmmmii.numbered_sgpr, 74
	.set _ZL18solve_tri_f32_fastILi64ELi16EEvPKfS1_Pf15HIP_vector_typeIjLj3EEmmmmmmii.num_named_barrier, 0
	.set _ZL18solve_tri_f32_fastILi64ELi16EEvPKfS1_Pf15HIP_vector_typeIjLj3EEmmmmmmii.private_seg_size, 0
	.set _ZL18solve_tri_f32_fastILi64ELi16EEvPKfS1_Pf15HIP_vector_typeIjLj3EEmmmmmmii.uses_vcc, 1
	.set _ZL18solve_tri_f32_fastILi64ELi16EEvPKfS1_Pf15HIP_vector_typeIjLj3EEmmmmmmii.uses_flat_scratch, 0
	.set _ZL18solve_tri_f32_fastILi64ELi16EEvPKfS1_Pf15HIP_vector_typeIjLj3EEmmmmmmii.has_dyn_sized_stack, 0
	.set _ZL18solve_tri_f32_fastILi64ELi16EEvPKfS1_Pf15HIP_vector_typeIjLj3EEmmmmmmii.has_recursion, 0
	.set _ZL18solve_tri_f32_fastILi64ELi16EEvPKfS1_Pf15HIP_vector_typeIjLj3EEmmmmmmii.has_indirect_call, 0
	.section	.AMDGPU.csdata,"",@progbits
; Kernel info:
; codeLenInByte = 15848
; TotalNumSgprs: 76
; NumVgprs: 17
; ScratchSize: 0
; MemoryBound: 0
; FloatMode: 240
; IeeeMode: 1
; LDSByteSize: 16384 bytes/workgroup (compile time only)
; SGPRBlocks: 0
; VGPRBlocks: 2
; NumSGPRsForWavesPerEU: 76
; NumVGPRsForWavesPerEU: 17
; Occupancy: 16
; WaveLimiterHint : 0
; COMPUTE_PGM_RSRC2:SCRATCH_EN: 0
; COMPUTE_PGM_RSRC2:USER_SGPR: 6
; COMPUTE_PGM_RSRC2:TRAP_HANDLER: 0
; COMPUTE_PGM_RSRC2:TGID_X_EN: 1
; COMPUTE_PGM_RSRC2:TGID_Y_EN: 0
; COMPUTE_PGM_RSRC2:TGID_Z_EN: 0
; COMPUTE_PGM_RSRC2:TIDIG_COMP_CNT: 1
	.section	.text._ZL18solve_tri_f32_fastILi64ELi14EEvPKfS1_Pf15HIP_vector_typeIjLj3EEmmmmmmii,"axG",@progbits,_ZL18solve_tri_f32_fastILi64ELi14EEvPKfS1_Pf15HIP_vector_typeIjLj3EEmmmmmmii,comdat
	.globl	_ZL18solve_tri_f32_fastILi64ELi14EEvPKfS1_Pf15HIP_vector_typeIjLj3EEmmmmmmii ; -- Begin function _ZL18solve_tri_f32_fastILi64ELi14EEvPKfS1_Pf15HIP_vector_typeIjLj3EEmmmmmmii
	.p2align	8
	.type	_ZL18solve_tri_f32_fastILi64ELi14EEvPKfS1_Pf15HIP_vector_typeIjLj3EEmmmmmmii,@function
_ZL18solve_tri_f32_fastILi64ELi14EEvPKfS1_Pf15HIP_vector_typeIjLj3EEmmmmmmii: ; @_ZL18solve_tri_f32_fastILi64ELi14EEvPKfS1_Pf15HIP_vector_typeIjLj3EEmmmmmmii
; %bb.0:
	s_mov_b32 s0, exec_lo
	v_cmpx_gt_u32_e32 14, v1
	s_cbranch_execz .LBB3_281
; %bb.1:
	s_clause 0x3
	s_load_dwordx4 s[0:3], s[4:5], 0x18
	s_load_dwordx8 s[8:15], s[4:5], 0x28
	s_load_dwordx2 s[16:17], s[4:5], 0x0
	s_load_dword s7, s[4:5], 0x6c
	s_waitcnt lgkmcnt(0)
	s_mul_hi_u32 s0, s0, s6
	s_add_i32 s0, s6, s0
	s_lshr_b32 s67, s0, s1
	s_mul_i32 s0, s67, s2
	s_mul_i32 s3, s11, s67
	s_sub_i32 s72, s6, s0
	s_mul_hi_u32 s6, s10, s67
	s_mul_i32 s1, s9, s72
	s_mul_hi_u32 s2, s8, s72
	s_mul_i32 s0, s8, s72
	s_add_i32 s1, s2, s1
	s_mul_i32 s2, s10, s67
	s_lshl_b64 s[0:1], s[0:1], 2
	s_add_u32 s8, s16, s0
	s_addc_u32 s9, s17, s1
	s_add_i32 s3, s6, s3
	s_lshl_b64 s[0:1], s[2:3], 2
	s_add_u32 s0, s8, s0
	s_addc_u32 s1, s9, s1
	s_and_b32 s2, s7, 0xffff
	v_mad_u32_u24 v3, v1, s2, v0
	s_mov_b32 s2, exec_lo
	v_lshlrev_b32_e32 v2, 2, v3
	v_cmpx_gt_u32_e32 0x1000, v3
	s_cbranch_execz .LBB3_3
; %bb.2:
	global_load_dword v4, v2, s[0:1]
	s_waitcnt vmcnt(0)
	ds_write_b32 v2, v4
.LBB3_3:
	s_or_b32 exec_lo, exec_lo, s2
	s_mov_b32 s2, exec_lo
	v_cmpx_gt_u32_e32 0xe40, v3
	s_cbranch_execz .LBB3_5
; %bb.4:
	global_load_dword v4, v2, s[0:1] offset:1792
	s_waitcnt vmcnt(0)
	ds_write_b32 v2, v4 offset:1792
.LBB3_5:
	s_or_b32 exec_lo, exec_lo, s2
	s_mov_b32 s2, exec_lo
	v_cmpx_gt_u32_e32 0xc80, v3
	s_cbranch_execz .LBB3_7
; %bb.6:
	v_add_nc_u32_e32 v4, 0xe00, v2
	global_load_dword v4, v4, s[0:1]
	s_waitcnt vmcnt(0)
	ds_write_b32 v2, v4 offset:3584
.LBB3_7:
	s_or_b32 exec_lo, exec_lo, s2
	s_mov_b32 s2, exec_lo
	v_cmpx_gt_u32_e32 0xac0, v3
	s_cbranch_execz .LBB3_9
; %bb.8:
	v_add_nc_u32_e32 v4, 0x1500, v2
	global_load_dword v4, v4, s[0:1]
	s_waitcnt vmcnt(0)
	ds_write_b32 v2, v4 offset:5376
.LBB3_9:
	;; [unrolled: 10-line block ×5, first 2 shown]
	s_or_b32 exec_lo, exec_lo, s2
	s_load_dwordx4 s[68:71], s[4:5], 0x48
	s_mov_b32 s2, exec_lo
	v_cmpx_gt_u32_e32 0x3c0, v3
	s_cbranch_execz .LBB3_17
; %bb.16:
	v_add_nc_u32_e32 v4, 0x3100, v2
	global_load_dword v4, v4, s[0:1]
	s_waitcnt vmcnt(0)
	ds_write_b32 v2, v4 offset:12544
.LBB3_17:
	s_or_b32 exec_lo, exec_lo, s2
	s_load_dwordx2 s[2:3], s[4:5], 0x8
	s_mov_b32 s6, exec_lo
	v_cmpx_gt_u32_e32 0x200, v3
	s_cbranch_execz .LBB3_19
; %bb.18:
	v_or_b32_e32 v4, 0x3800, v2
	global_load_dword v4, v4, s[0:1]
	s_waitcnt vmcnt(0)
	ds_write_b32 v2, v4 offset:14336
.LBB3_19:
	s_or_b32 exec_lo, exec_lo, s6
	s_mov_b32 s6, exec_lo
	v_cmpx_gt_u32_e32 64, v3
	s_cbranch_execz .LBB3_21
; %bb.20:
	v_or_b32_e32 v3, 0x3f00, v2
	global_load_dword v3, v3, s[0:1]
	s_waitcnt vmcnt(0)
	ds_write_b32 v2, v3 offset:16128
.LBB3_21:
	s_or_b32 exec_lo, exec_lo, s6
	s_mul_i32 s0, s13, s72
	s_mul_hi_u32 s1, s12, s72
	s_mul_i32 s6, s15, s67
	s_add_i32 s1, s1, s0
	s_mul_i32 s0, s12, s72
	s_mul_hi_u32 s7, s14, s67
	s_lshl_b64 s[0:1], s[0:1], 2
	s_add_i32 s7, s7, s6
	s_mul_i32 s6, s14, s67
	s_waitcnt lgkmcnt(0)
	s_add_u32 s2, s2, s0
	s_addc_u32 s3, s3, s1
	s_lshl_b64 s[0:1], s[6:7], 2
	v_mov_b32_e32 v11, 0
	s_add_u32 s2, s2, s0
	v_cmp_gt_u32_e64 s0, 64, v0
	v_mul_u32_u24_e32 v2, 14, v0
	v_mov_b32_e32 v10, 0
	s_addc_u32 s3, s3, s1
	s_barrier
	buffer_gl0_inv
	s_and_saveexec_b32 s1, s0
	s_cbranch_execz .LBB3_23
; %bb.22:
	v_add_lshl_u32 v3, v2, v1, 2
	global_load_dword v10, v3, s[2:3]
.LBB3_23:
	s_or_b32 exec_lo, exec_lo, s1
	v_add_nc_u32_e32 v3, 32, v0
	v_cmp_gt_u32_e64 s1, 32, v0
	v_mul_u32_u24_e32 v3, 14, v3
	s_and_saveexec_b32 s6, s1
	s_cbranch_execz .LBB3_25
; %bb.24:
	v_add_lshl_u32 v4, v3, v1, 2
	global_load_dword v11, v4, s[2:3]
.LBB3_25:
	s_or_b32 exec_lo, exec_lo, s6
	v_cmp_eq_u32_e64 s2, 0, v0
	s_and_saveexec_b32 s3, s2
	s_cbranch_execz .LBB3_27
; %bb.26:
	v_mov_b32_e32 v4, 0
	ds_read_b32 v4, v4
	s_waitcnt vmcnt(0) lgkmcnt(0)
	v_div_scale_f32 v5, null, v4, v4, v10
	v_rcp_f32_e32 v6, v5
	v_fma_f32 v7, -v5, v6, 1.0
	v_fmac_f32_e32 v6, v7, v6
	v_div_scale_f32 v7, vcc_lo, v10, v4, v10
	v_mul_f32_e32 v8, v7, v6
	v_fma_f32 v9, -v5, v8, v7
	v_fmac_f32_e32 v8, v9, v6
	v_fma_f32 v5, -v5, v8, v7
	v_div_fmas_f32 v5, v5, v6, v8
	v_div_fixup_f32 v10, v5, v4, v10
.LBB3_27:
	s_or_b32 exec_lo, exec_lo, s3
	v_lshlrev_b32_e32 v4, 2, v0
	v_mov_b32_e32 v7, 0
	s_and_saveexec_b32 s3, s2
	s_cbranch_execz .LBB3_29
; %bb.28:
	ds_read_b32 v5, v4 offset:256
	s_waitcnt vmcnt(0) lgkmcnt(0)
	v_fma_f32 v7, v10, v5, 0
.LBB3_29:
	s_or_b32 exec_lo, exec_lo, s3
	v_mbcnt_lo_u32_b32 v9, -1, 0
	v_cmp_eq_u32_e64 s37, 1, v0
	v_xor_b32_e32 v5, 16, v9
	v_xor_b32_e32 v6, 8, v9
	;; [unrolled: 1-line block ×3, first 2 shown]
	v_cmp_gt_i32_e32 vcc_lo, 32, v5
	v_cndmask_b32_e32 v5, v9, v5, vcc_lo
	v_cmp_gt_i32_e32 vcc_lo, 32, v6
	v_lshlrev_b32_e32 v5, 2, v5
	v_cndmask_b32_e32 v6, v9, v6, vcc_lo
	ds_bpermute_b32 v8, v5, v7
	v_lshlrev_b32_e32 v6, 2, v6
	s_waitcnt lgkmcnt(0)
	v_add_f32_e32 v8, v7, v8
	v_xor_b32_e32 v7, 4, v9
	ds_bpermute_b32 v12, v6, v8
	v_cmp_gt_i32_e32 vcc_lo, 32, v7
	v_cndmask_b32_e32 v7, v9, v7, vcc_lo
	v_lshlrev_b32_e32 v7, 2, v7
	s_waitcnt lgkmcnt(0)
	v_add_f32_e32 v12, v8, v12
	v_xor_b32_e32 v8, 2, v9
	ds_bpermute_b32 v13, v7, v12
	v_cmp_gt_i32_e32 vcc_lo, 32, v8
	v_cndmask_b32_e32 v8, v9, v8, vcc_lo
	v_cmp_gt_i32_e32 vcc_lo, 32, v14
	v_lshlrev_b32_e32 v8, 2, v8
	v_cndmask_b32_e32 v9, v9, v14, vcc_lo
	v_lshlrev_b32_e32 v9, 2, v9
	s_waitcnt lgkmcnt(0)
	v_add_f32_e32 v12, v12, v13
	ds_bpermute_b32 v13, v8, v12
	s_waitcnt lgkmcnt(0)
	v_add_f32_e32 v12, v12, v13
	ds_bpermute_b32 v13, v9, v12
	s_and_saveexec_b32 s3, s37
	s_cbranch_execz .LBB3_31
; %bb.30:
	v_mov_b32_e32 v14, 0
	s_waitcnt lgkmcnt(0)
	v_add_f32_e32 v12, v12, v13
	ds_read_b32 v14, v14 offset:260
	s_waitcnt vmcnt(0)
	v_sub_f32_e32 v10, v10, v12
	s_waitcnt lgkmcnt(0)
	v_div_scale_f32 v12, null, v14, v14, v10
	v_rcp_f32_e32 v13, v12
	v_fma_f32 v15, -v12, v13, 1.0
	v_fmac_f32_e32 v13, v15, v13
	v_div_scale_f32 v15, vcc_lo, v10, v14, v10
	v_mul_f32_e32 v16, v15, v13
	v_fma_f32 v17, -v12, v16, v15
	v_fmac_f32_e32 v16, v17, v13
	v_fma_f32 v12, -v12, v16, v15
	v_div_fmas_f32 v12, v12, v13, v16
	v_div_fixup_f32 v10, v12, v14, v10
.LBB3_31:
	s_or_b32 exec_lo, exec_lo, s3
	v_cmp_gt_u32_e64 s7, 2, v0
	v_mov_b32_e32 v12, 0
	s_and_saveexec_b32 s3, s7
	s_cbranch_execz .LBB3_33
; %bb.32:
	ds_read_b32 v12, v4 offset:512
	s_waitcnt vmcnt(0) lgkmcnt(0)
	v_fma_f32 v12, v10, v12, 0
.LBB3_33:
	s_or_b32 exec_lo, exec_lo, s3
	s_waitcnt lgkmcnt(0)
	ds_bpermute_b32 v13, v5, v12
	v_cmp_eq_u32_e64 s38, 2, v0
	s_waitcnt lgkmcnt(0)
	v_add_f32_e32 v12, v12, v13
	ds_bpermute_b32 v13, v6, v12
	s_waitcnt lgkmcnt(0)
	v_add_f32_e32 v12, v12, v13
	ds_bpermute_b32 v13, v7, v12
	s_waitcnt lgkmcnt(0)
	v_add_f32_e32 v12, v12, v13
	ds_bpermute_b32 v13, v8, v12
	s_waitcnt lgkmcnt(0)
	v_add_f32_e32 v12, v12, v13
	ds_bpermute_b32 v13, v9, v12
	s_and_saveexec_b32 s3, s38
	s_cbranch_execz .LBB3_35
; %bb.34:
	v_mov_b32_e32 v14, 0
	s_waitcnt lgkmcnt(0)
	v_add_f32_e32 v12, v12, v13
	ds_read_b32 v14, v14 offset:520
	s_waitcnt vmcnt(0)
	v_sub_f32_e32 v10, v10, v12
	s_waitcnt lgkmcnt(0)
	v_div_scale_f32 v12, null, v14, v14, v10
	v_rcp_f32_e32 v13, v12
	v_fma_f32 v15, -v12, v13, 1.0
	v_fmac_f32_e32 v13, v15, v13
	v_div_scale_f32 v15, vcc_lo, v10, v14, v10
	v_mul_f32_e32 v16, v15, v13
	v_fma_f32 v17, -v12, v16, v15
	v_fmac_f32_e32 v16, v17, v13
	v_fma_f32 v12, -v12, v16, v15
	v_div_fmas_f32 v12, v12, v13, v16
	v_div_fixup_f32 v10, v12, v14, v10
.LBB3_35:
	s_or_b32 exec_lo, exec_lo, s3
	v_cmp_gt_u32_e64 s8, 3, v0
	v_mov_b32_e32 v12, 0
	s_and_saveexec_b32 s3, s8
	s_cbranch_execz .LBB3_37
; %bb.36:
	ds_read_b32 v12, v4 offset:768
	s_waitcnt vmcnt(0) lgkmcnt(0)
	v_fma_f32 v12, v10, v12, 0
.LBB3_37:
	s_or_b32 exec_lo, exec_lo, s3
	s_waitcnt lgkmcnt(0)
	ds_bpermute_b32 v13, v5, v12
	v_cmp_eq_u32_e64 s39, 3, v0
	s_waitcnt lgkmcnt(0)
	v_add_f32_e32 v12, v12, v13
	ds_bpermute_b32 v13, v6, v12
	s_waitcnt lgkmcnt(0)
	v_add_f32_e32 v12, v12, v13
	ds_bpermute_b32 v13, v7, v12
	;; [unrolled: 48-line block ×30, first 2 shown]
	s_waitcnt lgkmcnt(0)
	v_add_f32_e32 v12, v12, v13
	ds_bpermute_b32 v13, v8, v12
	s_waitcnt lgkmcnt(0)
	v_add_f32_e32 v12, v12, v13
	ds_bpermute_b32 v13, v9, v12
	s_and_saveexec_b32 s73, s6
	s_cbranch_execz .LBB3_151
; %bb.150:
	v_mov_b32_e32 v0, 0
	s_waitcnt lgkmcnt(0)
	v_add_f32_e32 v12, v12, v13
	ds_read_b32 v0, v0 offset:8060
	s_waitcnt vmcnt(0)
	v_sub_f32_e32 v10, v10, v12
	s_waitcnt lgkmcnt(0)
	v_div_scale_f32 v12, null, v0, v0, v10
	v_rcp_f32_e32 v13, v12
	v_fma_f32 v14, -v12, v13, 1.0
	v_fmac_f32_e32 v13, v14, v13
	v_div_scale_f32 v14, vcc_lo, v10, v0, v10
	v_mul_f32_e32 v15, v14, v13
	v_fma_f32 v16, -v12, v15, v14
	v_fmac_f32_e32 v15, v16, v13
	v_fma_f32 v12, -v12, v15, v14
	v_div_fmas_f32 v12, v12, v13, v15
	v_div_fixup_f32 v10, v12, v0, v10
.LBB3_151:
	s_or_b32 exec_lo, exec_lo, s73
	ds_read_b32 v0, v4 offset:8192
	s_waitcnt vmcnt(0) lgkmcnt(0)
	v_mul_f32_e32 v12, v10, v0
	ds_bpermute_b32 v12, v5, v12
	s_waitcnt lgkmcnt(0)
	v_fmac_f32_e32 v12, v10, v0
	ds_bpermute_b32 v0, v6, v12
	s_waitcnt lgkmcnt(0)
	v_add_f32_e32 v0, v12, v0
	ds_bpermute_b32 v12, v7, v0
	s_waitcnt lgkmcnt(0)
	v_add_f32_e32 v0, v0, v12
	ds_bpermute_b32 v12, v8, v0
	s_waitcnt lgkmcnt(0)
	v_add_f32_e32 v0, v0, v12
	ds_bpermute_b32 v12, v9, v0
	s_and_saveexec_b32 s73, s2
	s_cbranch_execz .LBB3_153
; %bb.152:
	v_mov_b32_e32 v13, 0
	s_waitcnt lgkmcnt(0)
	v_add_f32_e32 v0, v0, v12
	ds_read_b32 v13, v13 offset:8320
	v_sub_f32_e32 v0, v11, v0
	s_waitcnt lgkmcnt(0)
	v_div_scale_f32 v11, null, v13, v13, v0
	v_rcp_f32_e32 v12, v11
	v_fma_f32 v14, -v11, v12, 1.0
	v_fmac_f32_e32 v12, v14, v12
	v_div_scale_f32 v14, vcc_lo, v0, v13, v0
	v_mul_f32_e32 v15, v14, v12
	v_fma_f32 v16, -v11, v15, v14
	v_fmac_f32_e32 v15, v16, v12
	v_fma_f32 v11, -v11, v15, v14
	v_div_fmas_f32 v11, v11, v12, v15
	v_div_fixup_f32 v11, v11, v13, v0
.LBB3_153:
	s_or_b32 exec_lo, exec_lo, s73
	ds_read_b32 v0, v4 offset:8448
	s_waitcnt lgkmcnt(0)
	v_mul_f32_e32 v0, v10, v0
	s_and_saveexec_b32 s73, s2
	s_cbranch_execz .LBB3_155
; %bb.154:
	ds_read_b32 v12, v4 offset:8576
	s_waitcnt lgkmcnt(0)
	v_fmac_f32_e32 v0, v11, v12
.LBB3_155:
	s_or_b32 exec_lo, exec_lo, s73
	ds_bpermute_b32 v12, v5, v0
	s_waitcnt lgkmcnt(0)
	v_add_f32_e32 v0, v0, v12
	ds_bpermute_b32 v12, v6, v0
	s_waitcnt lgkmcnt(0)
	v_add_f32_e32 v0, v0, v12
	ds_bpermute_b32 v12, v7, v0
	s_waitcnt lgkmcnt(0)
	v_add_f32_e32 v0, v0, v12
	ds_bpermute_b32 v12, v8, v0
	s_waitcnt lgkmcnt(0)
	v_add_f32_e32 v0, v0, v12
	ds_bpermute_b32 v12, v9, v0
	s_and_saveexec_b32 s2, s37
	s_cbranch_execz .LBB3_157
; %bb.156:
	v_mov_b32_e32 v13, 0
	s_waitcnt lgkmcnt(0)
	v_add_f32_e32 v0, v0, v12
	ds_read_b32 v13, v13 offset:8580
	v_sub_f32_e32 v0, v11, v0
	s_waitcnt lgkmcnt(0)
	v_div_scale_f32 v11, null, v13, v13, v0
	v_rcp_f32_e32 v12, v11
	v_fma_f32 v14, -v11, v12, 1.0
	v_fmac_f32_e32 v12, v14, v12
	v_div_scale_f32 v14, vcc_lo, v0, v13, v0
	v_mul_f32_e32 v15, v14, v12
	v_fma_f32 v16, -v11, v15, v14
	v_fmac_f32_e32 v15, v16, v12
	v_fma_f32 v11, -v11, v15, v14
	v_div_fmas_f32 v11, v11, v12, v15
	v_div_fixup_f32 v11, v11, v13, v0
.LBB3_157:
	s_or_b32 exec_lo, exec_lo, s2
	ds_read_b32 v0, v4 offset:8704
	s_waitcnt lgkmcnt(0)
	v_mul_f32_e32 v0, v10, v0
	s_and_saveexec_b32 s2, s7
	s_cbranch_execz .LBB3_159
; %bb.158:
	ds_read_b32 v12, v4 offset:8832
	s_waitcnt lgkmcnt(0)
	v_fmac_f32_e32 v0, v11, v12
.LBB3_159:
	s_or_b32 exec_lo, exec_lo, s2
	ds_bpermute_b32 v12, v5, v0
	s_waitcnt lgkmcnt(0)
	v_add_f32_e32 v0, v0, v12
	;; [unrolled: 46-line block ×30, first 2 shown]
	ds_bpermute_b32 v12, v6, v0
	s_waitcnt lgkmcnt(0)
	v_add_f32_e32 v0, v0, v12
	ds_bpermute_b32 v12, v7, v0
	s_waitcnt lgkmcnt(0)
	v_add_f32_e32 v0, v0, v12
	ds_bpermute_b32 v12, v8, v0
	s_waitcnt lgkmcnt(0)
	v_add_f32_e32 v0, v0, v12
	ds_bpermute_b32 v12, v9, v0
	s_and_saveexec_b32 s2, s66
	s_cbranch_execz .LBB3_273
; %bb.272:
	v_mov_b32_e32 v13, 0
	s_waitcnt lgkmcnt(0)
	v_add_f32_e32 v0, v0, v12
	ds_read_b32 v13, v13 offset:16120
	v_sub_f32_e32 v0, v11, v0
	s_waitcnt lgkmcnt(0)
	v_div_scale_f32 v11, null, v13, v13, v0
	v_rcp_f32_e32 v12, v11
	v_fma_f32 v14, -v11, v12, 1.0
	v_fmac_f32_e32 v12, v14, v12
	v_div_scale_f32 v14, vcc_lo, v0, v13, v0
	v_mul_f32_e32 v15, v14, v12
	v_fma_f32 v16, -v11, v15, v14
	v_fmac_f32_e32 v15, v16, v12
	v_fma_f32 v11, -v11, v15, v14
	v_div_fmas_f32 v11, v11, v12, v15
	v_div_fixup_f32 v11, v11, v13, v0
.LBB3_273:
	s_or_b32 exec_lo, exec_lo, s2
	ds_read_b32 v0, v4 offset:16128
	s_load_dwordx2 s[4:5], s[4:5], 0x10
	s_waitcnt lgkmcnt(0)
	v_mul_f32_e32 v0, v10, v0
	s_and_saveexec_b32 s2, s3
	s_cbranch_execz .LBB3_275
; %bb.274:
	ds_read_b32 v4, v4 offset:16256
	s_waitcnt lgkmcnt(0)
	v_fmac_f32_e32 v0, v11, v4
.LBB3_275:
	s_or_b32 exec_lo, exec_lo, s2
	ds_bpermute_b32 v4, v5, v0
	s_waitcnt lgkmcnt(0)
	v_add_f32_e32 v0, v0, v4
	ds_bpermute_b32 v4, v6, v0
	s_waitcnt lgkmcnt(0)
	v_add_f32_e32 v0, v0, v4
	;; [unrolled: 3-line block ×4, first 2 shown]
	ds_bpermute_b32 v4, v9, v0
	s_and_saveexec_b32 s2, s6
	s_cbranch_execz .LBB3_277
; %bb.276:
	v_mov_b32_e32 v5, 0
	s_waitcnt lgkmcnt(0)
	v_add_f32_e32 v0, v0, v4
	ds_read_b32 v5, v5 offset:16380
	v_sub_f32_e32 v0, v11, v0
	s_waitcnt lgkmcnt(0)
	v_div_scale_f32 v4, null, v5, v5, v0
	v_rcp_f32_e32 v6, v4
	v_fma_f32 v7, -v4, v6, 1.0
	v_fmac_f32_e32 v6, v7, v6
	v_div_scale_f32 v7, vcc_lo, v0, v5, v0
	v_mul_f32_e32 v8, v7, v6
	v_fma_f32 v9, -v4, v8, v7
	v_fmac_f32_e32 v8, v9, v6
	v_fma_f32 v4, -v4, v8, v7
	v_div_fmas_f32 v4, v4, v6, v8
	v_div_fixup_f32 v11, v4, v5, v0
.LBB3_277:
	s_or_b32 exec_lo, exec_lo, s2
	s_mul_i32 s2, s69, s72
	s_mul_hi_u32 s3, s68, s72
	s_mul_i32 s6, s71, s67
	s_add_i32 s3, s3, s2
	s_mul_i32 s2, s68, s72
	s_mul_hi_u32 s7, s70, s67
	s_lshl_b64 s[2:3], s[2:3], 2
	s_add_i32 s7, s7, s6
	s_mul_i32 s6, s70, s67
	s_add_u32 s4, s4, s2
	s_addc_u32 s5, s5, s3
	s_lshl_b64 s[2:3], s[6:7], 2
	s_add_u32 s2, s4, s2
	s_addc_u32 s3, s5, s3
	s_and_saveexec_b32 s4, s0
	s_cbranch_execz .LBB3_279
; %bb.278:
	v_cndmask_b32_e64 v0, v11, v10, s1
	v_add_lshl_u32 v2, v2, v1, 2
	global_store_dword v2, v0, s[2:3]
.LBB3_279:
	s_or_b32 exec_lo, exec_lo, s4
	s_and_b32 exec_lo, exec_lo, s1
	s_cbranch_execz .LBB3_281
; %bb.280:
	v_add_lshl_u32 v0, v3, v1, 2
	global_store_dword v0, v11, s[2:3]
.LBB3_281:
	s_endpgm
	.section	.rodata,"a",@progbits
	.p2align	6, 0x0
	.amdhsa_kernel _ZL18solve_tri_f32_fastILi64ELi14EEvPKfS1_Pf15HIP_vector_typeIjLj3EEmmmmmmii
		.amdhsa_group_segment_fixed_size 16384
		.amdhsa_private_segment_fixed_size 0
		.amdhsa_kernarg_size 352
		.amdhsa_user_sgpr_count 6
		.amdhsa_user_sgpr_private_segment_buffer 1
		.amdhsa_user_sgpr_dispatch_ptr 0
		.amdhsa_user_sgpr_queue_ptr 0
		.amdhsa_user_sgpr_kernarg_segment_ptr 1
		.amdhsa_user_sgpr_dispatch_id 0
		.amdhsa_user_sgpr_flat_scratch_init 0
		.amdhsa_user_sgpr_private_segment_size 0
		.amdhsa_wavefront_size32 1
		.amdhsa_uses_dynamic_stack 0
		.amdhsa_system_sgpr_private_segment_wavefront_offset 0
		.amdhsa_system_sgpr_workgroup_id_x 1
		.amdhsa_system_sgpr_workgroup_id_y 0
		.amdhsa_system_sgpr_workgroup_id_z 0
		.amdhsa_system_sgpr_workgroup_info 0
		.amdhsa_system_vgpr_workitem_id 1
		.amdhsa_next_free_vgpr 18
		.amdhsa_next_free_sgpr 74
		.amdhsa_reserve_vcc 1
		.amdhsa_reserve_flat_scratch 0
		.amdhsa_float_round_mode_32 0
		.amdhsa_float_round_mode_16_64 0
		.amdhsa_float_denorm_mode_32 3
		.amdhsa_float_denorm_mode_16_64 3
		.amdhsa_dx10_clamp 1
		.amdhsa_ieee_mode 1
		.amdhsa_fp16_overflow 0
		.amdhsa_workgroup_processor_mode 1
		.amdhsa_memory_ordered 1
		.amdhsa_forward_progress 1
		.amdhsa_shared_vgpr_count 0
		.amdhsa_exception_fp_ieee_invalid_op 0
		.amdhsa_exception_fp_denorm_src 0
		.amdhsa_exception_fp_ieee_div_zero 0
		.amdhsa_exception_fp_ieee_overflow 0
		.amdhsa_exception_fp_ieee_underflow 0
		.amdhsa_exception_fp_ieee_inexact 0
		.amdhsa_exception_int_div_zero 0
	.end_amdhsa_kernel
	.section	.text._ZL18solve_tri_f32_fastILi64ELi14EEvPKfS1_Pf15HIP_vector_typeIjLj3EEmmmmmmii,"axG",@progbits,_ZL18solve_tri_f32_fastILi64ELi14EEvPKfS1_Pf15HIP_vector_typeIjLj3EEmmmmmmii,comdat
.Lfunc_end3:
	.size	_ZL18solve_tri_f32_fastILi64ELi14EEvPKfS1_Pf15HIP_vector_typeIjLj3EEmmmmmmii, .Lfunc_end3-_ZL18solve_tri_f32_fastILi64ELi14EEvPKfS1_Pf15HIP_vector_typeIjLj3EEmmmmmmii
                                        ; -- End function
	.set _ZL18solve_tri_f32_fastILi64ELi14EEvPKfS1_Pf15HIP_vector_typeIjLj3EEmmmmmmii.num_vgpr, 18
	.set _ZL18solve_tri_f32_fastILi64ELi14EEvPKfS1_Pf15HIP_vector_typeIjLj3EEmmmmmmii.num_agpr, 0
	.set _ZL18solve_tri_f32_fastILi64ELi14EEvPKfS1_Pf15HIP_vector_typeIjLj3EEmmmmmmii.numbered_sgpr, 74
	.set _ZL18solve_tri_f32_fastILi64ELi14EEvPKfS1_Pf15HIP_vector_typeIjLj3EEmmmmmmii.num_named_barrier, 0
	.set _ZL18solve_tri_f32_fastILi64ELi14EEvPKfS1_Pf15HIP_vector_typeIjLj3EEmmmmmmii.private_seg_size, 0
	.set _ZL18solve_tri_f32_fastILi64ELi14EEvPKfS1_Pf15HIP_vector_typeIjLj3EEmmmmmmii.uses_vcc, 1
	.set _ZL18solve_tri_f32_fastILi64ELi14EEvPKfS1_Pf15HIP_vector_typeIjLj3EEmmmmmmii.uses_flat_scratch, 0
	.set _ZL18solve_tri_f32_fastILi64ELi14EEvPKfS1_Pf15HIP_vector_typeIjLj3EEmmmmmmii.has_dyn_sized_stack, 0
	.set _ZL18solve_tri_f32_fastILi64ELi14EEvPKfS1_Pf15HIP_vector_typeIjLj3EEmmmmmmii.has_recursion, 0
	.set _ZL18solve_tri_f32_fastILi64ELi14EEvPKfS1_Pf15HIP_vector_typeIjLj3EEmmmmmmii.has_indirect_call, 0
	.section	.AMDGPU.csdata,"",@progbits
; Kernel info:
; codeLenInByte = 15936
; TotalNumSgprs: 76
; NumVgprs: 18
; ScratchSize: 0
; MemoryBound: 0
; FloatMode: 240
; IeeeMode: 1
; LDSByteSize: 16384 bytes/workgroup (compile time only)
; SGPRBlocks: 0
; VGPRBlocks: 2
; NumSGPRsForWavesPerEU: 76
; NumVGPRsForWavesPerEU: 18
; Occupancy: 16
; WaveLimiterHint : 0
; COMPUTE_PGM_RSRC2:SCRATCH_EN: 0
; COMPUTE_PGM_RSRC2:USER_SGPR: 6
; COMPUTE_PGM_RSRC2:TRAP_HANDLER: 0
; COMPUTE_PGM_RSRC2:TGID_X_EN: 1
; COMPUTE_PGM_RSRC2:TGID_Y_EN: 0
; COMPUTE_PGM_RSRC2:TGID_Z_EN: 0
; COMPUTE_PGM_RSRC2:TIDIG_COMP_CNT: 1
	.section	.text._ZL18solve_tri_f32_fastILi64ELi12EEvPKfS1_Pf15HIP_vector_typeIjLj3EEmmmmmmii,"axG",@progbits,_ZL18solve_tri_f32_fastILi64ELi12EEvPKfS1_Pf15HIP_vector_typeIjLj3EEmmmmmmii,comdat
	.globl	_ZL18solve_tri_f32_fastILi64ELi12EEvPKfS1_Pf15HIP_vector_typeIjLj3EEmmmmmmii ; -- Begin function _ZL18solve_tri_f32_fastILi64ELi12EEvPKfS1_Pf15HIP_vector_typeIjLj3EEmmmmmmii
	.p2align	8
	.type	_ZL18solve_tri_f32_fastILi64ELi12EEvPKfS1_Pf15HIP_vector_typeIjLj3EEmmmmmmii,@function
_ZL18solve_tri_f32_fastILi64ELi12EEvPKfS1_Pf15HIP_vector_typeIjLj3EEmmmmmmii: ; @_ZL18solve_tri_f32_fastILi64ELi12EEvPKfS1_Pf15HIP_vector_typeIjLj3EEmmmmmmii
; %bb.0:
	s_mov_b32 s0, exec_lo
	v_cmpx_gt_u32_e32 12, v1
	s_cbranch_execz .LBB4_283
; %bb.1:
	s_clause 0x3
	s_load_dwordx4 s[0:3], s[4:5], 0x18
	s_load_dwordx8 s[8:15], s[4:5], 0x28
	s_load_dwordx2 s[16:17], s[4:5], 0x0
	s_load_dword s7, s[4:5], 0x6c
	s_waitcnt lgkmcnt(0)
	s_mul_hi_u32 s0, s0, s6
	s_add_i32 s0, s6, s0
	s_lshr_b32 s67, s0, s1
	s_mul_i32 s0, s67, s2
	s_mul_i32 s3, s11, s67
	s_sub_i32 s72, s6, s0
	s_mul_hi_u32 s6, s10, s67
	s_mul_i32 s1, s9, s72
	s_mul_hi_u32 s2, s8, s72
	s_mul_i32 s0, s8, s72
	s_add_i32 s1, s2, s1
	s_mul_i32 s2, s10, s67
	s_lshl_b64 s[0:1], s[0:1], 2
	s_add_u32 s8, s16, s0
	s_addc_u32 s9, s17, s1
	s_add_i32 s3, s6, s3
	s_lshl_b64 s[0:1], s[2:3], 2
	s_add_u32 s0, s8, s0
	s_addc_u32 s1, s9, s1
	s_and_b32 s2, s7, 0xffff
	v_mad_u32_u24 v3, v1, s2, v0
	s_mov_b32 s2, exec_lo
	v_lshlrev_b32_e32 v2, 2, v3
	v_cmpx_gt_u32_e32 0x1000, v3
	s_cbranch_execz .LBB4_3
; %bb.2:
	global_load_dword v4, v2, s[0:1]
	s_waitcnt vmcnt(0)
	ds_write_b32 v2, v4
.LBB4_3:
	s_or_b32 exec_lo, exec_lo, s2
	s_mov_b32 s2, exec_lo
	v_cmpx_gt_u32_e32 0xe80, v3
	s_cbranch_execz .LBB4_5
; %bb.4:
	global_load_dword v4, v2, s[0:1] offset:1536
	s_waitcnt vmcnt(0)
	ds_write_b32 v2, v4 offset:1536
.LBB4_5:
	s_or_b32 exec_lo, exec_lo, s2
	s_mov_b32 s2, exec_lo
	v_cmpx_gt_u32_e32 0xd00, v3
	s_cbranch_execz .LBB4_7
; %bb.6:
	v_add_nc_u32_e32 v4, 0xc00, v2
	global_load_dword v4, v4, s[0:1]
	s_waitcnt vmcnt(0)
	ds_write_b32 v2, v4 offset:3072
.LBB4_7:
	s_or_b32 exec_lo, exec_lo, s2
	s_mov_b32 s2, exec_lo
	v_cmpx_gt_u32_e32 0xb80, v3
	s_cbranch_execz .LBB4_9
; %bb.8:
	v_add_nc_u32_e32 v4, 0x1200, v2
	global_load_dword v4, v4, s[0:1]
	s_waitcnt vmcnt(0)
	ds_write_b32 v2, v4 offset:4608
.LBB4_9:
	;; [unrolled: 10-line block ×6, first 2 shown]
	s_or_b32 exec_lo, exec_lo, s2
	s_load_dwordx4 s[68:71], s[4:5], 0x48
	s_mov_b32 s2, exec_lo
	v_cmpx_gt_u32_e32 0x400, v3
	s_cbranch_execz .LBB4_19
; %bb.18:
	v_or_b32_e32 v4, 0x3000, v2
	global_load_dword v4, v4, s[0:1]
	s_waitcnt vmcnt(0)
	ds_write_b32 v2, v4 offset:12288
.LBB4_19:
	s_or_b32 exec_lo, exec_lo, s2
	s_load_dwordx2 s[2:3], s[4:5], 0x8
	s_mov_b32 s6, exec_lo
	v_cmpx_gt_u32_e32 0x280, v3
	s_cbranch_execz .LBB4_21
; %bb.20:
	v_add_nc_u32_e32 v4, 0x3600, v2
	global_load_dword v4, v4, s[0:1]
	s_waitcnt vmcnt(0)
	ds_write_b32 v2, v4 offset:13824
.LBB4_21:
	s_or_b32 exec_lo, exec_lo, s6
	s_mov_b32 s6, exec_lo
	v_cmpx_gt_u32_e32 0x100, v3
	s_cbranch_execz .LBB4_23
; %bb.22:
	v_or_b32_e32 v3, 0x3c00, v2
	global_load_dword v3, v3, s[0:1]
	s_waitcnt vmcnt(0)
	ds_write_b32 v2, v3 offset:15360
.LBB4_23:
	s_or_b32 exec_lo, exec_lo, s6
	s_mul_i32 s0, s13, s72
	s_mul_hi_u32 s1, s12, s72
	s_mul_i32 s6, s15, s67
	s_add_i32 s1, s1, s0
	s_mul_i32 s0, s12, s72
	s_mul_hi_u32 s7, s14, s67
	s_lshl_b64 s[0:1], s[0:1], 2
	s_add_i32 s7, s7, s6
	s_mul_i32 s6, s14, s67
	s_waitcnt lgkmcnt(0)
	s_add_u32 s2, s2, s0
	s_addc_u32 s3, s3, s1
	s_lshl_b64 s[0:1], s[6:7], 2
	v_mov_b32_e32 v11, 0
	s_add_u32 s2, s2, s0
	v_cmp_gt_u32_e64 s0, 64, v0
	v_mul_u32_u24_e32 v2, 12, v0
	v_mov_b32_e32 v10, 0
	s_addc_u32 s3, s3, s1
	s_barrier
	buffer_gl0_inv
	s_and_saveexec_b32 s1, s0
	s_cbranch_execz .LBB4_25
; %bb.24:
	v_add_lshl_u32 v3, v2, v1, 2
	global_load_dword v10, v3, s[2:3]
.LBB4_25:
	s_or_b32 exec_lo, exec_lo, s1
	v_add_nc_u32_e32 v3, 32, v0
	v_cmp_gt_u32_e64 s1, 32, v0
	v_mul_u32_u24_e32 v3, 12, v3
	s_and_saveexec_b32 s6, s1
	s_cbranch_execz .LBB4_27
; %bb.26:
	v_add_lshl_u32 v4, v3, v1, 2
	global_load_dword v11, v4, s[2:3]
.LBB4_27:
	s_or_b32 exec_lo, exec_lo, s6
	v_cmp_eq_u32_e64 s2, 0, v0
	s_and_saveexec_b32 s3, s2
	s_cbranch_execz .LBB4_29
; %bb.28:
	v_mov_b32_e32 v4, 0
	ds_read_b32 v4, v4
	s_waitcnt vmcnt(0) lgkmcnt(0)
	v_div_scale_f32 v5, null, v4, v4, v10
	v_rcp_f32_e32 v6, v5
	v_fma_f32 v7, -v5, v6, 1.0
	v_fmac_f32_e32 v6, v7, v6
	v_div_scale_f32 v7, vcc_lo, v10, v4, v10
	v_mul_f32_e32 v8, v7, v6
	v_fma_f32 v9, -v5, v8, v7
	v_fmac_f32_e32 v8, v9, v6
	v_fma_f32 v5, -v5, v8, v7
	v_div_fmas_f32 v5, v5, v6, v8
	v_div_fixup_f32 v10, v5, v4, v10
.LBB4_29:
	s_or_b32 exec_lo, exec_lo, s3
	v_lshlrev_b32_e32 v4, 2, v0
	v_mov_b32_e32 v7, 0
	s_and_saveexec_b32 s3, s2
	s_cbranch_execz .LBB4_31
; %bb.30:
	ds_read_b32 v5, v4 offset:256
	s_waitcnt vmcnt(0) lgkmcnt(0)
	v_fma_f32 v7, v10, v5, 0
.LBB4_31:
	s_or_b32 exec_lo, exec_lo, s3
	v_mbcnt_lo_u32_b32 v9, -1, 0
	v_cmp_eq_u32_e64 s37, 1, v0
	v_xor_b32_e32 v5, 16, v9
	v_xor_b32_e32 v6, 8, v9
	;; [unrolled: 1-line block ×3, first 2 shown]
	v_cmp_gt_i32_e32 vcc_lo, 32, v5
	v_cndmask_b32_e32 v5, v9, v5, vcc_lo
	v_cmp_gt_i32_e32 vcc_lo, 32, v6
	v_lshlrev_b32_e32 v5, 2, v5
	v_cndmask_b32_e32 v6, v9, v6, vcc_lo
	ds_bpermute_b32 v8, v5, v7
	v_lshlrev_b32_e32 v6, 2, v6
	s_waitcnt lgkmcnt(0)
	v_add_f32_e32 v8, v7, v8
	v_xor_b32_e32 v7, 4, v9
	ds_bpermute_b32 v12, v6, v8
	v_cmp_gt_i32_e32 vcc_lo, 32, v7
	v_cndmask_b32_e32 v7, v9, v7, vcc_lo
	v_lshlrev_b32_e32 v7, 2, v7
	s_waitcnt lgkmcnt(0)
	v_add_f32_e32 v12, v8, v12
	v_xor_b32_e32 v8, 2, v9
	ds_bpermute_b32 v13, v7, v12
	v_cmp_gt_i32_e32 vcc_lo, 32, v8
	v_cndmask_b32_e32 v8, v9, v8, vcc_lo
	v_cmp_gt_i32_e32 vcc_lo, 32, v14
	v_lshlrev_b32_e32 v8, 2, v8
	v_cndmask_b32_e32 v9, v9, v14, vcc_lo
	v_lshlrev_b32_e32 v9, 2, v9
	s_waitcnt lgkmcnt(0)
	v_add_f32_e32 v12, v12, v13
	ds_bpermute_b32 v13, v8, v12
	s_waitcnt lgkmcnt(0)
	v_add_f32_e32 v12, v12, v13
	ds_bpermute_b32 v13, v9, v12
	s_and_saveexec_b32 s3, s37
	s_cbranch_execz .LBB4_33
; %bb.32:
	v_mov_b32_e32 v14, 0
	s_waitcnt lgkmcnt(0)
	v_add_f32_e32 v12, v12, v13
	ds_read_b32 v14, v14 offset:260
	s_waitcnt vmcnt(0)
	v_sub_f32_e32 v10, v10, v12
	s_waitcnt lgkmcnt(0)
	v_div_scale_f32 v12, null, v14, v14, v10
	v_rcp_f32_e32 v13, v12
	v_fma_f32 v15, -v12, v13, 1.0
	v_fmac_f32_e32 v13, v15, v13
	v_div_scale_f32 v15, vcc_lo, v10, v14, v10
	v_mul_f32_e32 v16, v15, v13
	v_fma_f32 v17, -v12, v16, v15
	v_fmac_f32_e32 v16, v17, v13
	v_fma_f32 v12, -v12, v16, v15
	v_div_fmas_f32 v12, v12, v13, v16
	v_div_fixup_f32 v10, v12, v14, v10
.LBB4_33:
	s_or_b32 exec_lo, exec_lo, s3
	v_cmp_gt_u32_e64 s7, 2, v0
	v_mov_b32_e32 v12, 0
	s_and_saveexec_b32 s3, s7
	s_cbranch_execz .LBB4_35
; %bb.34:
	ds_read_b32 v12, v4 offset:512
	s_waitcnt vmcnt(0) lgkmcnt(0)
	v_fma_f32 v12, v10, v12, 0
.LBB4_35:
	s_or_b32 exec_lo, exec_lo, s3
	s_waitcnt lgkmcnt(0)
	ds_bpermute_b32 v13, v5, v12
	v_cmp_eq_u32_e64 s38, 2, v0
	s_waitcnt lgkmcnt(0)
	v_add_f32_e32 v12, v12, v13
	ds_bpermute_b32 v13, v6, v12
	s_waitcnt lgkmcnt(0)
	v_add_f32_e32 v12, v12, v13
	ds_bpermute_b32 v13, v7, v12
	s_waitcnt lgkmcnt(0)
	v_add_f32_e32 v12, v12, v13
	ds_bpermute_b32 v13, v8, v12
	s_waitcnt lgkmcnt(0)
	v_add_f32_e32 v12, v12, v13
	ds_bpermute_b32 v13, v9, v12
	s_and_saveexec_b32 s3, s38
	s_cbranch_execz .LBB4_37
; %bb.36:
	v_mov_b32_e32 v14, 0
	s_waitcnt lgkmcnt(0)
	v_add_f32_e32 v12, v12, v13
	ds_read_b32 v14, v14 offset:520
	s_waitcnt vmcnt(0)
	v_sub_f32_e32 v10, v10, v12
	s_waitcnt lgkmcnt(0)
	v_div_scale_f32 v12, null, v14, v14, v10
	v_rcp_f32_e32 v13, v12
	v_fma_f32 v15, -v12, v13, 1.0
	v_fmac_f32_e32 v13, v15, v13
	v_div_scale_f32 v15, vcc_lo, v10, v14, v10
	v_mul_f32_e32 v16, v15, v13
	v_fma_f32 v17, -v12, v16, v15
	v_fmac_f32_e32 v16, v17, v13
	v_fma_f32 v12, -v12, v16, v15
	v_div_fmas_f32 v12, v12, v13, v16
	v_div_fixup_f32 v10, v12, v14, v10
.LBB4_37:
	s_or_b32 exec_lo, exec_lo, s3
	v_cmp_gt_u32_e64 s8, 3, v0
	v_mov_b32_e32 v12, 0
	s_and_saveexec_b32 s3, s8
	s_cbranch_execz .LBB4_39
; %bb.38:
	ds_read_b32 v12, v4 offset:768
	s_waitcnt vmcnt(0) lgkmcnt(0)
	v_fma_f32 v12, v10, v12, 0
.LBB4_39:
	s_or_b32 exec_lo, exec_lo, s3
	s_waitcnt lgkmcnt(0)
	ds_bpermute_b32 v13, v5, v12
	v_cmp_eq_u32_e64 s39, 3, v0
	s_waitcnt lgkmcnt(0)
	v_add_f32_e32 v12, v12, v13
	ds_bpermute_b32 v13, v6, v12
	s_waitcnt lgkmcnt(0)
	v_add_f32_e32 v12, v12, v13
	ds_bpermute_b32 v13, v7, v12
	;; [unrolled: 48-line block ×30, first 2 shown]
	s_waitcnt lgkmcnt(0)
	v_add_f32_e32 v12, v12, v13
	ds_bpermute_b32 v13, v8, v12
	s_waitcnt lgkmcnt(0)
	v_add_f32_e32 v12, v12, v13
	ds_bpermute_b32 v13, v9, v12
	s_and_saveexec_b32 s73, s6
	s_cbranch_execz .LBB4_153
; %bb.152:
	v_mov_b32_e32 v0, 0
	s_waitcnt lgkmcnt(0)
	v_add_f32_e32 v12, v12, v13
	ds_read_b32 v0, v0 offset:8060
	s_waitcnt vmcnt(0)
	v_sub_f32_e32 v10, v10, v12
	s_waitcnt lgkmcnt(0)
	v_div_scale_f32 v12, null, v0, v0, v10
	v_rcp_f32_e32 v13, v12
	v_fma_f32 v14, -v12, v13, 1.0
	v_fmac_f32_e32 v13, v14, v13
	v_div_scale_f32 v14, vcc_lo, v10, v0, v10
	v_mul_f32_e32 v15, v14, v13
	v_fma_f32 v16, -v12, v15, v14
	v_fmac_f32_e32 v15, v16, v13
	v_fma_f32 v12, -v12, v15, v14
	v_div_fmas_f32 v12, v12, v13, v15
	v_div_fixup_f32 v10, v12, v0, v10
.LBB4_153:
	s_or_b32 exec_lo, exec_lo, s73
	ds_read_b32 v0, v4 offset:8192
	s_waitcnt vmcnt(0) lgkmcnt(0)
	v_mul_f32_e32 v12, v10, v0
	ds_bpermute_b32 v12, v5, v12
	s_waitcnt lgkmcnt(0)
	v_fmac_f32_e32 v12, v10, v0
	ds_bpermute_b32 v0, v6, v12
	s_waitcnt lgkmcnt(0)
	v_add_f32_e32 v0, v12, v0
	ds_bpermute_b32 v12, v7, v0
	s_waitcnt lgkmcnt(0)
	v_add_f32_e32 v0, v0, v12
	ds_bpermute_b32 v12, v8, v0
	s_waitcnt lgkmcnt(0)
	v_add_f32_e32 v0, v0, v12
	ds_bpermute_b32 v12, v9, v0
	s_and_saveexec_b32 s73, s2
	s_cbranch_execz .LBB4_155
; %bb.154:
	v_mov_b32_e32 v13, 0
	s_waitcnt lgkmcnt(0)
	v_add_f32_e32 v0, v0, v12
	ds_read_b32 v13, v13 offset:8320
	v_sub_f32_e32 v0, v11, v0
	s_waitcnt lgkmcnt(0)
	v_div_scale_f32 v11, null, v13, v13, v0
	v_rcp_f32_e32 v12, v11
	v_fma_f32 v14, -v11, v12, 1.0
	v_fmac_f32_e32 v12, v14, v12
	v_div_scale_f32 v14, vcc_lo, v0, v13, v0
	v_mul_f32_e32 v15, v14, v12
	v_fma_f32 v16, -v11, v15, v14
	v_fmac_f32_e32 v15, v16, v12
	v_fma_f32 v11, -v11, v15, v14
	v_div_fmas_f32 v11, v11, v12, v15
	v_div_fixup_f32 v11, v11, v13, v0
.LBB4_155:
	s_or_b32 exec_lo, exec_lo, s73
	ds_read_b32 v0, v4 offset:8448
	s_waitcnt lgkmcnt(0)
	v_mul_f32_e32 v0, v10, v0
	s_and_saveexec_b32 s73, s2
	s_cbranch_execz .LBB4_157
; %bb.156:
	ds_read_b32 v12, v4 offset:8576
	s_waitcnt lgkmcnt(0)
	v_fmac_f32_e32 v0, v11, v12
.LBB4_157:
	s_or_b32 exec_lo, exec_lo, s73
	ds_bpermute_b32 v12, v5, v0
	s_waitcnt lgkmcnt(0)
	v_add_f32_e32 v0, v0, v12
	ds_bpermute_b32 v12, v6, v0
	s_waitcnt lgkmcnt(0)
	v_add_f32_e32 v0, v0, v12
	ds_bpermute_b32 v12, v7, v0
	s_waitcnt lgkmcnt(0)
	v_add_f32_e32 v0, v0, v12
	ds_bpermute_b32 v12, v8, v0
	s_waitcnt lgkmcnt(0)
	v_add_f32_e32 v0, v0, v12
	ds_bpermute_b32 v12, v9, v0
	s_and_saveexec_b32 s2, s37
	s_cbranch_execz .LBB4_159
; %bb.158:
	v_mov_b32_e32 v13, 0
	s_waitcnt lgkmcnt(0)
	v_add_f32_e32 v0, v0, v12
	ds_read_b32 v13, v13 offset:8580
	v_sub_f32_e32 v0, v11, v0
	s_waitcnt lgkmcnt(0)
	v_div_scale_f32 v11, null, v13, v13, v0
	v_rcp_f32_e32 v12, v11
	v_fma_f32 v14, -v11, v12, 1.0
	v_fmac_f32_e32 v12, v14, v12
	v_div_scale_f32 v14, vcc_lo, v0, v13, v0
	v_mul_f32_e32 v15, v14, v12
	v_fma_f32 v16, -v11, v15, v14
	v_fmac_f32_e32 v15, v16, v12
	v_fma_f32 v11, -v11, v15, v14
	v_div_fmas_f32 v11, v11, v12, v15
	v_div_fixup_f32 v11, v11, v13, v0
.LBB4_159:
	s_or_b32 exec_lo, exec_lo, s2
	ds_read_b32 v0, v4 offset:8704
	s_waitcnt lgkmcnt(0)
	v_mul_f32_e32 v0, v10, v0
	s_and_saveexec_b32 s2, s7
	s_cbranch_execz .LBB4_161
; %bb.160:
	ds_read_b32 v12, v4 offset:8832
	s_waitcnt lgkmcnt(0)
	v_fmac_f32_e32 v0, v11, v12
.LBB4_161:
	s_or_b32 exec_lo, exec_lo, s2
	ds_bpermute_b32 v12, v5, v0
	s_waitcnt lgkmcnt(0)
	v_add_f32_e32 v0, v0, v12
	;; [unrolled: 46-line block ×30, first 2 shown]
	ds_bpermute_b32 v12, v6, v0
	s_waitcnt lgkmcnt(0)
	v_add_f32_e32 v0, v0, v12
	ds_bpermute_b32 v12, v7, v0
	s_waitcnt lgkmcnt(0)
	v_add_f32_e32 v0, v0, v12
	;; [unrolled: 3-line block ×3, first 2 shown]
	ds_bpermute_b32 v12, v9, v0
	s_and_saveexec_b32 s2, s66
	s_cbranch_execz .LBB4_275
; %bb.274:
	v_mov_b32_e32 v13, 0
	s_waitcnt lgkmcnt(0)
	v_add_f32_e32 v0, v0, v12
	ds_read_b32 v13, v13 offset:16120
	v_sub_f32_e32 v0, v11, v0
	s_waitcnt lgkmcnt(0)
	v_div_scale_f32 v11, null, v13, v13, v0
	v_rcp_f32_e32 v12, v11
	v_fma_f32 v14, -v11, v12, 1.0
	v_fmac_f32_e32 v12, v14, v12
	v_div_scale_f32 v14, vcc_lo, v0, v13, v0
	v_mul_f32_e32 v15, v14, v12
	v_fma_f32 v16, -v11, v15, v14
	v_fmac_f32_e32 v15, v16, v12
	v_fma_f32 v11, -v11, v15, v14
	v_div_fmas_f32 v11, v11, v12, v15
	v_div_fixup_f32 v11, v11, v13, v0
.LBB4_275:
	s_or_b32 exec_lo, exec_lo, s2
	ds_read_b32 v0, v4 offset:16128
	s_load_dwordx2 s[4:5], s[4:5], 0x10
	s_waitcnt lgkmcnt(0)
	v_mul_f32_e32 v0, v10, v0
	s_and_saveexec_b32 s2, s3
	s_cbranch_execz .LBB4_277
; %bb.276:
	ds_read_b32 v4, v4 offset:16256
	s_waitcnt lgkmcnt(0)
	v_fmac_f32_e32 v0, v11, v4
.LBB4_277:
	s_or_b32 exec_lo, exec_lo, s2
	ds_bpermute_b32 v4, v5, v0
	s_waitcnt lgkmcnt(0)
	v_add_f32_e32 v0, v0, v4
	ds_bpermute_b32 v4, v6, v0
	s_waitcnt lgkmcnt(0)
	v_add_f32_e32 v0, v0, v4
	;; [unrolled: 3-line block ×4, first 2 shown]
	ds_bpermute_b32 v4, v9, v0
	s_and_saveexec_b32 s2, s6
	s_cbranch_execz .LBB4_279
; %bb.278:
	v_mov_b32_e32 v5, 0
	s_waitcnt lgkmcnt(0)
	v_add_f32_e32 v0, v0, v4
	ds_read_b32 v5, v5 offset:16380
	v_sub_f32_e32 v0, v11, v0
	s_waitcnt lgkmcnt(0)
	v_div_scale_f32 v4, null, v5, v5, v0
	v_rcp_f32_e32 v6, v4
	v_fma_f32 v7, -v4, v6, 1.0
	v_fmac_f32_e32 v6, v7, v6
	v_div_scale_f32 v7, vcc_lo, v0, v5, v0
	v_mul_f32_e32 v8, v7, v6
	v_fma_f32 v9, -v4, v8, v7
	v_fmac_f32_e32 v8, v9, v6
	v_fma_f32 v4, -v4, v8, v7
	v_div_fmas_f32 v4, v4, v6, v8
	v_div_fixup_f32 v11, v4, v5, v0
.LBB4_279:
	s_or_b32 exec_lo, exec_lo, s2
	s_mul_i32 s2, s69, s72
	s_mul_hi_u32 s3, s68, s72
	s_mul_i32 s6, s71, s67
	s_add_i32 s3, s3, s2
	s_mul_i32 s2, s68, s72
	s_mul_hi_u32 s7, s70, s67
	s_lshl_b64 s[2:3], s[2:3], 2
	s_add_i32 s7, s7, s6
	s_mul_i32 s6, s70, s67
	s_add_u32 s4, s4, s2
	s_addc_u32 s5, s5, s3
	s_lshl_b64 s[2:3], s[6:7], 2
	s_add_u32 s2, s4, s2
	s_addc_u32 s3, s5, s3
	s_and_saveexec_b32 s4, s0
	s_cbranch_execz .LBB4_281
; %bb.280:
	v_cndmask_b32_e64 v0, v11, v10, s1
	v_add_lshl_u32 v2, v2, v1, 2
	global_store_dword v2, v0, s[2:3]
.LBB4_281:
	s_or_b32 exec_lo, exec_lo, s4
	s_and_b32 exec_lo, exec_lo, s1
	s_cbranch_execz .LBB4_283
; %bb.282:
	v_add_lshl_u32 v0, v3, v1, 2
	global_store_dword v0, v11, s[2:3]
.LBB4_283:
	s_endpgm
	.section	.rodata,"a",@progbits
	.p2align	6, 0x0
	.amdhsa_kernel _ZL18solve_tri_f32_fastILi64ELi12EEvPKfS1_Pf15HIP_vector_typeIjLj3EEmmmmmmii
		.amdhsa_group_segment_fixed_size 16384
		.amdhsa_private_segment_fixed_size 0
		.amdhsa_kernarg_size 352
		.amdhsa_user_sgpr_count 6
		.amdhsa_user_sgpr_private_segment_buffer 1
		.amdhsa_user_sgpr_dispatch_ptr 0
		.amdhsa_user_sgpr_queue_ptr 0
		.amdhsa_user_sgpr_kernarg_segment_ptr 1
		.amdhsa_user_sgpr_dispatch_id 0
		.amdhsa_user_sgpr_flat_scratch_init 0
		.amdhsa_user_sgpr_private_segment_size 0
		.amdhsa_wavefront_size32 1
		.amdhsa_uses_dynamic_stack 0
		.amdhsa_system_sgpr_private_segment_wavefront_offset 0
		.amdhsa_system_sgpr_workgroup_id_x 1
		.amdhsa_system_sgpr_workgroup_id_y 0
		.amdhsa_system_sgpr_workgroup_id_z 0
		.amdhsa_system_sgpr_workgroup_info 0
		.amdhsa_system_vgpr_workitem_id 1
		.amdhsa_next_free_vgpr 18
		.amdhsa_next_free_sgpr 74
		.amdhsa_reserve_vcc 1
		.amdhsa_reserve_flat_scratch 0
		.amdhsa_float_round_mode_32 0
		.amdhsa_float_round_mode_16_64 0
		.amdhsa_float_denorm_mode_32 3
		.amdhsa_float_denorm_mode_16_64 3
		.amdhsa_dx10_clamp 1
		.amdhsa_ieee_mode 1
		.amdhsa_fp16_overflow 0
		.amdhsa_workgroup_processor_mode 1
		.amdhsa_memory_ordered 1
		.amdhsa_forward_progress 1
		.amdhsa_shared_vgpr_count 0
		.amdhsa_exception_fp_ieee_invalid_op 0
		.amdhsa_exception_fp_denorm_src 0
		.amdhsa_exception_fp_ieee_div_zero 0
		.amdhsa_exception_fp_ieee_overflow 0
		.amdhsa_exception_fp_ieee_underflow 0
		.amdhsa_exception_fp_ieee_inexact 0
		.amdhsa_exception_int_div_zero 0
	.end_amdhsa_kernel
	.section	.text._ZL18solve_tri_f32_fastILi64ELi12EEvPKfS1_Pf15HIP_vector_typeIjLj3EEmmmmmmii,"axG",@progbits,_ZL18solve_tri_f32_fastILi64ELi12EEvPKfS1_Pf15HIP_vector_typeIjLj3EEmmmmmmii,comdat
.Lfunc_end4:
	.size	_ZL18solve_tri_f32_fastILi64ELi12EEvPKfS1_Pf15HIP_vector_typeIjLj3EEmmmmmmii, .Lfunc_end4-_ZL18solve_tri_f32_fastILi64ELi12EEvPKfS1_Pf15HIP_vector_typeIjLj3EEmmmmmmii
                                        ; -- End function
	.set _ZL18solve_tri_f32_fastILi64ELi12EEvPKfS1_Pf15HIP_vector_typeIjLj3EEmmmmmmii.num_vgpr, 18
	.set _ZL18solve_tri_f32_fastILi64ELi12EEvPKfS1_Pf15HIP_vector_typeIjLj3EEmmmmmmii.num_agpr, 0
	.set _ZL18solve_tri_f32_fastILi64ELi12EEvPKfS1_Pf15HIP_vector_typeIjLj3EEmmmmmmii.numbered_sgpr, 74
	.set _ZL18solve_tri_f32_fastILi64ELi12EEvPKfS1_Pf15HIP_vector_typeIjLj3EEmmmmmmii.num_named_barrier, 0
	.set _ZL18solve_tri_f32_fastILi64ELi12EEvPKfS1_Pf15HIP_vector_typeIjLj3EEmmmmmmii.private_seg_size, 0
	.set _ZL18solve_tri_f32_fastILi64ELi12EEvPKfS1_Pf15HIP_vector_typeIjLj3EEmmmmmmii.uses_vcc, 1
	.set _ZL18solve_tri_f32_fastILi64ELi12EEvPKfS1_Pf15HIP_vector_typeIjLj3EEmmmmmmii.uses_flat_scratch, 0
	.set _ZL18solve_tri_f32_fastILi64ELi12EEvPKfS1_Pf15HIP_vector_typeIjLj3EEmmmmmmii.has_dyn_sized_stack, 0
	.set _ZL18solve_tri_f32_fastILi64ELi12EEvPKfS1_Pf15HIP_vector_typeIjLj3EEmmmmmmii.has_recursion, 0
	.set _ZL18solve_tri_f32_fastILi64ELi12EEvPKfS1_Pf15HIP_vector_typeIjLj3EEmmmmmmii.has_indirect_call, 0
	.section	.AMDGPU.csdata,"",@progbits
; Kernel info:
; codeLenInByte = 15988
; TotalNumSgprs: 76
; NumVgprs: 18
; ScratchSize: 0
; MemoryBound: 0
; FloatMode: 240
; IeeeMode: 1
; LDSByteSize: 16384 bytes/workgroup (compile time only)
; SGPRBlocks: 0
; VGPRBlocks: 2
; NumSGPRsForWavesPerEU: 76
; NumVGPRsForWavesPerEU: 18
; Occupancy: 16
; WaveLimiterHint : 0
; COMPUTE_PGM_RSRC2:SCRATCH_EN: 0
; COMPUTE_PGM_RSRC2:USER_SGPR: 6
; COMPUTE_PGM_RSRC2:TRAP_HANDLER: 0
; COMPUTE_PGM_RSRC2:TGID_X_EN: 1
; COMPUTE_PGM_RSRC2:TGID_Y_EN: 0
; COMPUTE_PGM_RSRC2:TGID_Z_EN: 0
; COMPUTE_PGM_RSRC2:TIDIG_COMP_CNT: 1
	.section	.text._ZL18solve_tri_f32_fastILi64ELi10EEvPKfS1_Pf15HIP_vector_typeIjLj3EEmmmmmmii,"axG",@progbits,_ZL18solve_tri_f32_fastILi64ELi10EEvPKfS1_Pf15HIP_vector_typeIjLj3EEmmmmmmii,comdat
	.globl	_ZL18solve_tri_f32_fastILi64ELi10EEvPKfS1_Pf15HIP_vector_typeIjLj3EEmmmmmmii ; -- Begin function _ZL18solve_tri_f32_fastILi64ELi10EEvPKfS1_Pf15HIP_vector_typeIjLj3EEmmmmmmii
	.p2align	8
	.type	_ZL18solve_tri_f32_fastILi64ELi10EEvPKfS1_Pf15HIP_vector_typeIjLj3EEmmmmmmii,@function
_ZL18solve_tri_f32_fastILi64ELi10EEvPKfS1_Pf15HIP_vector_typeIjLj3EEmmmmmmii: ; @_ZL18solve_tri_f32_fastILi64ELi10EEvPKfS1_Pf15HIP_vector_typeIjLj3EEmmmmmmii
; %bb.0:
	s_mov_b32 s0, exec_lo
	v_cmpx_gt_u32_e32 10, v1
	s_cbranch_execz .LBB5_287
; %bb.1:
	s_clause 0x3
	s_load_dwordx4 s[0:3], s[4:5], 0x18
	s_load_dwordx8 s[8:15], s[4:5], 0x28
	s_load_dwordx2 s[16:17], s[4:5], 0x0
	s_load_dword s7, s[4:5], 0x6c
	s_waitcnt lgkmcnt(0)
	s_mul_hi_u32 s0, s0, s6
	s_add_i32 s0, s6, s0
	s_lshr_b32 s67, s0, s1
	s_mul_i32 s0, s67, s2
	s_mul_i32 s3, s11, s67
	s_sub_i32 s72, s6, s0
	s_mul_hi_u32 s6, s10, s67
	s_mul_i32 s1, s9, s72
	s_mul_hi_u32 s2, s8, s72
	s_mul_i32 s0, s8, s72
	s_add_i32 s1, s2, s1
	s_mul_i32 s2, s10, s67
	s_lshl_b64 s[0:1], s[0:1], 2
	s_add_u32 s8, s16, s0
	s_addc_u32 s9, s17, s1
	s_add_i32 s3, s6, s3
	s_lshl_b64 s[0:1], s[2:3], 2
	s_add_u32 s0, s8, s0
	s_addc_u32 s1, s9, s1
	s_and_b32 s2, s7, 0xffff
	v_mad_u32_u24 v3, v1, s2, v0
	s_mov_b32 s2, exec_lo
	v_lshlrev_b32_e32 v2, 2, v3
	v_cmpx_gt_u32_e32 0x1000, v3
	s_cbranch_execz .LBB5_3
; %bb.2:
	global_load_dword v4, v2, s[0:1]
	s_waitcnt vmcnt(0)
	ds_write_b32 v2, v4
.LBB5_3:
	s_or_b32 exec_lo, exec_lo, s2
	s_mov_b32 s2, exec_lo
	v_cmpx_gt_u32_e32 0xec0, v3
	s_cbranch_execz .LBB5_5
; %bb.4:
	global_load_dword v4, v2, s[0:1] offset:1280
	s_waitcnt vmcnt(0)
	ds_write_b32 v2, v4 offset:1280
.LBB5_5:
	s_or_b32 exec_lo, exec_lo, s2
	s_mov_b32 s2, exec_lo
	v_cmpx_gt_u32_e32 0xd80, v3
	s_cbranch_execz .LBB5_7
; %bb.6:
	v_add_nc_u32_e32 v4, 0xa00, v2
	global_load_dword v4, v4, s[0:1]
	s_waitcnt vmcnt(0)
	ds_write_b32 v2, v4 offset:2560
.LBB5_7:
	s_or_b32 exec_lo, exec_lo, s2
	s_mov_b32 s2, exec_lo
	v_cmpx_gt_u32_e32 0xc40, v3
	s_cbranch_execz .LBB5_9
; %bb.8:
	v_add_nc_u32_e32 v4, 0xf00, v2
	global_load_dword v4, v4, s[0:1]
	s_waitcnt vmcnt(0)
	ds_write_b32 v2, v4 offset:3840
.LBB5_9:
	;; [unrolled: 10-line block ×8, first 2 shown]
	s_or_b32 exec_lo, exec_lo, s2
	s_load_dwordx4 s[68:71], s[4:5], 0x48
	s_mov_b32 s2, exec_lo
	v_cmpx_gt_u32_e32 0x380, v3
	s_cbranch_execz .LBB5_23
; %bb.22:
	v_add_nc_u32_e32 v4, 0x3200, v2
	global_load_dword v4, v4, s[0:1]
	s_waitcnt vmcnt(0)
	ds_write_b32 v2, v4 offset:12800
.LBB5_23:
	s_or_b32 exec_lo, exec_lo, s2
	s_load_dwordx2 s[2:3], s[4:5], 0x8
	s_mov_b32 s6, exec_lo
	v_cmpx_gt_u32_e32 0x240, v3
	s_cbranch_execz .LBB5_25
; %bb.24:
	v_add_nc_u32_e32 v4, 0x3700, v2
	global_load_dword v4, v4, s[0:1]
	s_waitcnt vmcnt(0)
	ds_write_b32 v2, v4 offset:14080
.LBB5_25:
	s_or_b32 exec_lo, exec_lo, s6
	s_mov_b32 s6, exec_lo
	v_cmpx_gt_u32_e32 0x100, v3
	s_cbranch_execz .LBB5_27
; %bb.26:
	v_or_b32_e32 v3, 0x3c00, v2
	global_load_dword v3, v3, s[0:1]
	s_waitcnt vmcnt(0)
	ds_write_b32 v2, v3 offset:15360
.LBB5_27:
	s_or_b32 exec_lo, exec_lo, s6
	s_mul_i32 s0, s13, s72
	s_mul_hi_u32 s1, s12, s72
	s_mul_i32 s6, s15, s67
	s_add_i32 s1, s1, s0
	s_mul_i32 s0, s12, s72
	s_mul_hi_u32 s7, s14, s67
	s_lshl_b64 s[0:1], s[0:1], 2
	s_add_i32 s7, s7, s6
	s_mul_i32 s6, s14, s67
	s_waitcnt lgkmcnt(0)
	s_add_u32 s2, s2, s0
	s_addc_u32 s3, s3, s1
	s_lshl_b64 s[0:1], s[6:7], 2
	v_mov_b32_e32 v11, 0
	s_add_u32 s2, s2, s0
	v_cmp_gt_u32_e64 s0, 64, v0
	v_mul_u32_u24_e32 v2, 10, v0
	v_mov_b32_e32 v10, 0
	s_addc_u32 s3, s3, s1
	s_barrier
	buffer_gl0_inv
	s_and_saveexec_b32 s1, s0
	s_cbranch_execz .LBB5_29
; %bb.28:
	v_add_lshl_u32 v3, v2, v1, 2
	global_load_dword v10, v3, s[2:3]
.LBB5_29:
	s_or_b32 exec_lo, exec_lo, s1
	v_add_nc_u32_e32 v3, 32, v0
	v_cmp_gt_u32_e64 s1, 32, v0
	v_mul_u32_u24_e32 v3, 10, v3
	s_and_saveexec_b32 s6, s1
	s_cbranch_execz .LBB5_31
; %bb.30:
	v_add_lshl_u32 v4, v3, v1, 2
	global_load_dword v11, v4, s[2:3]
.LBB5_31:
	s_or_b32 exec_lo, exec_lo, s6
	v_cmp_eq_u32_e64 s2, 0, v0
	s_and_saveexec_b32 s3, s2
	s_cbranch_execz .LBB5_33
; %bb.32:
	v_mov_b32_e32 v4, 0
	ds_read_b32 v4, v4
	s_waitcnt vmcnt(0) lgkmcnt(0)
	v_div_scale_f32 v5, null, v4, v4, v10
	v_rcp_f32_e32 v6, v5
	v_fma_f32 v7, -v5, v6, 1.0
	v_fmac_f32_e32 v6, v7, v6
	v_div_scale_f32 v7, vcc_lo, v10, v4, v10
	v_mul_f32_e32 v8, v7, v6
	v_fma_f32 v9, -v5, v8, v7
	v_fmac_f32_e32 v8, v9, v6
	v_fma_f32 v5, -v5, v8, v7
	v_div_fmas_f32 v5, v5, v6, v8
	v_div_fixup_f32 v10, v5, v4, v10
.LBB5_33:
	s_or_b32 exec_lo, exec_lo, s3
	v_lshlrev_b32_e32 v4, 2, v0
	v_mov_b32_e32 v7, 0
	s_and_saveexec_b32 s3, s2
	s_cbranch_execz .LBB5_35
; %bb.34:
	ds_read_b32 v5, v4 offset:256
	s_waitcnt vmcnt(0) lgkmcnt(0)
	v_fma_f32 v7, v10, v5, 0
.LBB5_35:
	s_or_b32 exec_lo, exec_lo, s3
	v_mbcnt_lo_u32_b32 v9, -1, 0
	v_cmp_eq_u32_e64 s37, 1, v0
	v_xor_b32_e32 v5, 16, v9
	v_xor_b32_e32 v6, 8, v9
	;; [unrolled: 1-line block ×3, first 2 shown]
	v_cmp_gt_i32_e32 vcc_lo, 32, v5
	v_cndmask_b32_e32 v5, v9, v5, vcc_lo
	v_cmp_gt_i32_e32 vcc_lo, 32, v6
	v_lshlrev_b32_e32 v5, 2, v5
	v_cndmask_b32_e32 v6, v9, v6, vcc_lo
	ds_bpermute_b32 v8, v5, v7
	v_lshlrev_b32_e32 v6, 2, v6
	s_waitcnt lgkmcnt(0)
	v_add_f32_e32 v8, v7, v8
	v_xor_b32_e32 v7, 4, v9
	ds_bpermute_b32 v12, v6, v8
	v_cmp_gt_i32_e32 vcc_lo, 32, v7
	v_cndmask_b32_e32 v7, v9, v7, vcc_lo
	v_lshlrev_b32_e32 v7, 2, v7
	s_waitcnt lgkmcnt(0)
	v_add_f32_e32 v12, v8, v12
	v_xor_b32_e32 v8, 2, v9
	ds_bpermute_b32 v13, v7, v12
	v_cmp_gt_i32_e32 vcc_lo, 32, v8
	v_cndmask_b32_e32 v8, v9, v8, vcc_lo
	v_cmp_gt_i32_e32 vcc_lo, 32, v14
	v_lshlrev_b32_e32 v8, 2, v8
	v_cndmask_b32_e32 v9, v9, v14, vcc_lo
	v_lshlrev_b32_e32 v9, 2, v9
	s_waitcnt lgkmcnt(0)
	v_add_f32_e32 v12, v12, v13
	ds_bpermute_b32 v13, v8, v12
	s_waitcnt lgkmcnt(0)
	v_add_f32_e32 v12, v12, v13
	ds_bpermute_b32 v13, v9, v12
	s_and_saveexec_b32 s3, s37
	s_cbranch_execz .LBB5_37
; %bb.36:
	v_mov_b32_e32 v14, 0
	s_waitcnt lgkmcnt(0)
	v_add_f32_e32 v12, v12, v13
	ds_read_b32 v14, v14 offset:260
	s_waitcnt vmcnt(0)
	v_sub_f32_e32 v10, v10, v12
	s_waitcnt lgkmcnt(0)
	v_div_scale_f32 v12, null, v14, v14, v10
	v_rcp_f32_e32 v13, v12
	v_fma_f32 v15, -v12, v13, 1.0
	v_fmac_f32_e32 v13, v15, v13
	v_div_scale_f32 v15, vcc_lo, v10, v14, v10
	v_mul_f32_e32 v16, v15, v13
	v_fma_f32 v17, -v12, v16, v15
	v_fmac_f32_e32 v16, v17, v13
	v_fma_f32 v12, -v12, v16, v15
	v_div_fmas_f32 v12, v12, v13, v16
	v_div_fixup_f32 v10, v12, v14, v10
.LBB5_37:
	s_or_b32 exec_lo, exec_lo, s3
	v_cmp_gt_u32_e64 s7, 2, v0
	v_mov_b32_e32 v12, 0
	s_and_saveexec_b32 s3, s7
	s_cbranch_execz .LBB5_39
; %bb.38:
	ds_read_b32 v12, v4 offset:512
	s_waitcnt vmcnt(0) lgkmcnt(0)
	v_fma_f32 v12, v10, v12, 0
.LBB5_39:
	s_or_b32 exec_lo, exec_lo, s3
	s_waitcnt lgkmcnt(0)
	ds_bpermute_b32 v13, v5, v12
	v_cmp_eq_u32_e64 s38, 2, v0
	s_waitcnt lgkmcnt(0)
	v_add_f32_e32 v12, v12, v13
	ds_bpermute_b32 v13, v6, v12
	s_waitcnt lgkmcnt(0)
	v_add_f32_e32 v12, v12, v13
	ds_bpermute_b32 v13, v7, v12
	s_waitcnt lgkmcnt(0)
	v_add_f32_e32 v12, v12, v13
	ds_bpermute_b32 v13, v8, v12
	s_waitcnt lgkmcnt(0)
	v_add_f32_e32 v12, v12, v13
	ds_bpermute_b32 v13, v9, v12
	s_and_saveexec_b32 s3, s38
	s_cbranch_execz .LBB5_41
; %bb.40:
	v_mov_b32_e32 v14, 0
	s_waitcnt lgkmcnt(0)
	v_add_f32_e32 v12, v12, v13
	ds_read_b32 v14, v14 offset:520
	s_waitcnt vmcnt(0)
	v_sub_f32_e32 v10, v10, v12
	s_waitcnt lgkmcnt(0)
	v_div_scale_f32 v12, null, v14, v14, v10
	v_rcp_f32_e32 v13, v12
	v_fma_f32 v15, -v12, v13, 1.0
	v_fmac_f32_e32 v13, v15, v13
	v_div_scale_f32 v15, vcc_lo, v10, v14, v10
	v_mul_f32_e32 v16, v15, v13
	v_fma_f32 v17, -v12, v16, v15
	v_fmac_f32_e32 v16, v17, v13
	v_fma_f32 v12, -v12, v16, v15
	v_div_fmas_f32 v12, v12, v13, v16
	v_div_fixup_f32 v10, v12, v14, v10
.LBB5_41:
	s_or_b32 exec_lo, exec_lo, s3
	v_cmp_gt_u32_e64 s8, 3, v0
	v_mov_b32_e32 v12, 0
	s_and_saveexec_b32 s3, s8
	s_cbranch_execz .LBB5_43
; %bb.42:
	ds_read_b32 v12, v4 offset:768
	s_waitcnt vmcnt(0) lgkmcnt(0)
	v_fma_f32 v12, v10, v12, 0
.LBB5_43:
	s_or_b32 exec_lo, exec_lo, s3
	s_waitcnt lgkmcnt(0)
	ds_bpermute_b32 v13, v5, v12
	v_cmp_eq_u32_e64 s39, 3, v0
	s_waitcnt lgkmcnt(0)
	v_add_f32_e32 v12, v12, v13
	ds_bpermute_b32 v13, v6, v12
	s_waitcnt lgkmcnt(0)
	v_add_f32_e32 v12, v12, v13
	ds_bpermute_b32 v13, v7, v12
	;; [unrolled: 48-line block ×30, first 2 shown]
	s_waitcnt lgkmcnt(0)
	v_add_f32_e32 v12, v12, v13
	ds_bpermute_b32 v13, v8, v12
	s_waitcnt lgkmcnt(0)
	v_add_f32_e32 v12, v12, v13
	ds_bpermute_b32 v13, v9, v12
	s_and_saveexec_b32 s73, s6
	s_cbranch_execz .LBB5_157
; %bb.156:
	v_mov_b32_e32 v0, 0
	s_waitcnt lgkmcnt(0)
	v_add_f32_e32 v12, v12, v13
	ds_read_b32 v0, v0 offset:8060
	s_waitcnt vmcnt(0)
	v_sub_f32_e32 v10, v10, v12
	s_waitcnt lgkmcnt(0)
	v_div_scale_f32 v12, null, v0, v0, v10
	v_rcp_f32_e32 v13, v12
	v_fma_f32 v14, -v12, v13, 1.0
	v_fmac_f32_e32 v13, v14, v13
	v_div_scale_f32 v14, vcc_lo, v10, v0, v10
	v_mul_f32_e32 v15, v14, v13
	v_fma_f32 v16, -v12, v15, v14
	v_fmac_f32_e32 v15, v16, v13
	v_fma_f32 v12, -v12, v15, v14
	v_div_fmas_f32 v12, v12, v13, v15
	v_div_fixup_f32 v10, v12, v0, v10
.LBB5_157:
	s_or_b32 exec_lo, exec_lo, s73
	ds_read_b32 v0, v4 offset:8192
	s_waitcnt vmcnt(0) lgkmcnt(0)
	v_mul_f32_e32 v12, v10, v0
	ds_bpermute_b32 v12, v5, v12
	s_waitcnt lgkmcnt(0)
	v_fmac_f32_e32 v12, v10, v0
	ds_bpermute_b32 v0, v6, v12
	s_waitcnt lgkmcnt(0)
	v_add_f32_e32 v0, v12, v0
	ds_bpermute_b32 v12, v7, v0
	s_waitcnt lgkmcnt(0)
	v_add_f32_e32 v0, v0, v12
	ds_bpermute_b32 v12, v8, v0
	s_waitcnt lgkmcnt(0)
	v_add_f32_e32 v0, v0, v12
	ds_bpermute_b32 v12, v9, v0
	s_and_saveexec_b32 s73, s2
	s_cbranch_execz .LBB5_159
; %bb.158:
	v_mov_b32_e32 v13, 0
	s_waitcnt lgkmcnt(0)
	v_add_f32_e32 v0, v0, v12
	ds_read_b32 v13, v13 offset:8320
	v_sub_f32_e32 v0, v11, v0
	s_waitcnt lgkmcnt(0)
	v_div_scale_f32 v11, null, v13, v13, v0
	v_rcp_f32_e32 v12, v11
	v_fma_f32 v14, -v11, v12, 1.0
	v_fmac_f32_e32 v12, v14, v12
	v_div_scale_f32 v14, vcc_lo, v0, v13, v0
	v_mul_f32_e32 v15, v14, v12
	v_fma_f32 v16, -v11, v15, v14
	v_fmac_f32_e32 v15, v16, v12
	v_fma_f32 v11, -v11, v15, v14
	v_div_fmas_f32 v11, v11, v12, v15
	v_div_fixup_f32 v11, v11, v13, v0
.LBB5_159:
	s_or_b32 exec_lo, exec_lo, s73
	ds_read_b32 v0, v4 offset:8448
	s_waitcnt lgkmcnt(0)
	v_mul_f32_e32 v0, v10, v0
	s_and_saveexec_b32 s73, s2
	s_cbranch_execz .LBB5_161
; %bb.160:
	ds_read_b32 v12, v4 offset:8576
	s_waitcnt lgkmcnt(0)
	v_fmac_f32_e32 v0, v11, v12
.LBB5_161:
	s_or_b32 exec_lo, exec_lo, s73
	ds_bpermute_b32 v12, v5, v0
	s_waitcnt lgkmcnt(0)
	v_add_f32_e32 v0, v0, v12
	ds_bpermute_b32 v12, v6, v0
	s_waitcnt lgkmcnt(0)
	v_add_f32_e32 v0, v0, v12
	ds_bpermute_b32 v12, v7, v0
	s_waitcnt lgkmcnt(0)
	v_add_f32_e32 v0, v0, v12
	ds_bpermute_b32 v12, v8, v0
	s_waitcnt lgkmcnt(0)
	v_add_f32_e32 v0, v0, v12
	ds_bpermute_b32 v12, v9, v0
	s_and_saveexec_b32 s2, s37
	s_cbranch_execz .LBB5_163
; %bb.162:
	v_mov_b32_e32 v13, 0
	s_waitcnt lgkmcnt(0)
	v_add_f32_e32 v0, v0, v12
	ds_read_b32 v13, v13 offset:8580
	v_sub_f32_e32 v0, v11, v0
	s_waitcnt lgkmcnt(0)
	v_div_scale_f32 v11, null, v13, v13, v0
	v_rcp_f32_e32 v12, v11
	v_fma_f32 v14, -v11, v12, 1.0
	v_fmac_f32_e32 v12, v14, v12
	v_div_scale_f32 v14, vcc_lo, v0, v13, v0
	v_mul_f32_e32 v15, v14, v12
	v_fma_f32 v16, -v11, v15, v14
	v_fmac_f32_e32 v15, v16, v12
	v_fma_f32 v11, -v11, v15, v14
	v_div_fmas_f32 v11, v11, v12, v15
	v_div_fixup_f32 v11, v11, v13, v0
.LBB5_163:
	s_or_b32 exec_lo, exec_lo, s2
	ds_read_b32 v0, v4 offset:8704
	s_waitcnt lgkmcnt(0)
	v_mul_f32_e32 v0, v10, v0
	s_and_saveexec_b32 s2, s7
	s_cbranch_execz .LBB5_165
; %bb.164:
	ds_read_b32 v12, v4 offset:8832
	s_waitcnt lgkmcnt(0)
	v_fmac_f32_e32 v0, v11, v12
.LBB5_165:
	s_or_b32 exec_lo, exec_lo, s2
	ds_bpermute_b32 v12, v5, v0
	s_waitcnt lgkmcnt(0)
	v_add_f32_e32 v0, v0, v12
	;; [unrolled: 46-line block ×30, first 2 shown]
	ds_bpermute_b32 v12, v6, v0
	s_waitcnt lgkmcnt(0)
	v_add_f32_e32 v0, v0, v12
	ds_bpermute_b32 v12, v7, v0
	s_waitcnt lgkmcnt(0)
	v_add_f32_e32 v0, v0, v12
	;; [unrolled: 3-line block ×3, first 2 shown]
	ds_bpermute_b32 v12, v9, v0
	s_and_saveexec_b32 s2, s66
	s_cbranch_execz .LBB5_279
; %bb.278:
	v_mov_b32_e32 v13, 0
	s_waitcnt lgkmcnt(0)
	v_add_f32_e32 v0, v0, v12
	ds_read_b32 v13, v13 offset:16120
	v_sub_f32_e32 v0, v11, v0
	s_waitcnt lgkmcnt(0)
	v_div_scale_f32 v11, null, v13, v13, v0
	v_rcp_f32_e32 v12, v11
	v_fma_f32 v14, -v11, v12, 1.0
	v_fmac_f32_e32 v12, v14, v12
	v_div_scale_f32 v14, vcc_lo, v0, v13, v0
	v_mul_f32_e32 v15, v14, v12
	v_fma_f32 v16, -v11, v15, v14
	v_fmac_f32_e32 v15, v16, v12
	v_fma_f32 v11, -v11, v15, v14
	v_div_fmas_f32 v11, v11, v12, v15
	v_div_fixup_f32 v11, v11, v13, v0
.LBB5_279:
	s_or_b32 exec_lo, exec_lo, s2
	ds_read_b32 v0, v4 offset:16128
	s_load_dwordx2 s[4:5], s[4:5], 0x10
	s_waitcnt lgkmcnt(0)
	v_mul_f32_e32 v0, v10, v0
	s_and_saveexec_b32 s2, s3
	s_cbranch_execz .LBB5_281
; %bb.280:
	ds_read_b32 v4, v4 offset:16256
	s_waitcnt lgkmcnt(0)
	v_fmac_f32_e32 v0, v11, v4
.LBB5_281:
	s_or_b32 exec_lo, exec_lo, s2
	ds_bpermute_b32 v4, v5, v0
	s_waitcnt lgkmcnt(0)
	v_add_f32_e32 v0, v0, v4
	ds_bpermute_b32 v4, v6, v0
	s_waitcnt lgkmcnt(0)
	v_add_f32_e32 v0, v0, v4
	;; [unrolled: 3-line block ×4, first 2 shown]
	ds_bpermute_b32 v4, v9, v0
	s_and_saveexec_b32 s2, s6
	s_cbranch_execz .LBB5_283
; %bb.282:
	v_mov_b32_e32 v5, 0
	s_waitcnt lgkmcnt(0)
	v_add_f32_e32 v0, v0, v4
	ds_read_b32 v5, v5 offset:16380
	v_sub_f32_e32 v0, v11, v0
	s_waitcnt lgkmcnt(0)
	v_div_scale_f32 v4, null, v5, v5, v0
	v_rcp_f32_e32 v6, v4
	v_fma_f32 v7, -v4, v6, 1.0
	v_fmac_f32_e32 v6, v7, v6
	v_div_scale_f32 v7, vcc_lo, v0, v5, v0
	v_mul_f32_e32 v8, v7, v6
	v_fma_f32 v9, -v4, v8, v7
	v_fmac_f32_e32 v8, v9, v6
	v_fma_f32 v4, -v4, v8, v7
	v_div_fmas_f32 v4, v4, v6, v8
	v_div_fixup_f32 v11, v4, v5, v0
.LBB5_283:
	s_or_b32 exec_lo, exec_lo, s2
	s_mul_i32 s2, s69, s72
	s_mul_hi_u32 s3, s68, s72
	s_mul_i32 s6, s71, s67
	s_add_i32 s3, s3, s2
	s_mul_i32 s2, s68, s72
	s_mul_hi_u32 s7, s70, s67
	s_lshl_b64 s[2:3], s[2:3], 2
	s_add_i32 s7, s7, s6
	s_mul_i32 s6, s70, s67
	s_add_u32 s4, s4, s2
	s_addc_u32 s5, s5, s3
	s_lshl_b64 s[2:3], s[6:7], 2
	s_add_u32 s2, s4, s2
	s_addc_u32 s3, s5, s3
	s_and_saveexec_b32 s4, s0
	s_cbranch_execz .LBB5_285
; %bb.284:
	v_cndmask_b32_e64 v0, v11, v10, s1
	v_add_lshl_u32 v2, v2, v1, 2
	global_store_dword v2, v0, s[2:3]
.LBB5_285:
	s_or_b32 exec_lo, exec_lo, s4
	s_and_b32 exec_lo, exec_lo, s1
	s_cbranch_execz .LBB5_287
; %bb.286:
	v_add_lshl_u32 v0, v3, v1, 2
	global_store_dword v0, v11, s[2:3]
.LBB5_287:
	s_endpgm
	.section	.rodata,"a",@progbits
	.p2align	6, 0x0
	.amdhsa_kernel _ZL18solve_tri_f32_fastILi64ELi10EEvPKfS1_Pf15HIP_vector_typeIjLj3EEmmmmmmii
		.amdhsa_group_segment_fixed_size 16384
		.amdhsa_private_segment_fixed_size 0
		.amdhsa_kernarg_size 352
		.amdhsa_user_sgpr_count 6
		.amdhsa_user_sgpr_private_segment_buffer 1
		.amdhsa_user_sgpr_dispatch_ptr 0
		.amdhsa_user_sgpr_queue_ptr 0
		.amdhsa_user_sgpr_kernarg_segment_ptr 1
		.amdhsa_user_sgpr_dispatch_id 0
		.amdhsa_user_sgpr_flat_scratch_init 0
		.amdhsa_user_sgpr_private_segment_size 0
		.amdhsa_wavefront_size32 1
		.amdhsa_uses_dynamic_stack 0
		.amdhsa_system_sgpr_private_segment_wavefront_offset 0
		.amdhsa_system_sgpr_workgroup_id_x 1
		.amdhsa_system_sgpr_workgroup_id_y 0
		.amdhsa_system_sgpr_workgroup_id_z 0
		.amdhsa_system_sgpr_workgroup_info 0
		.amdhsa_system_vgpr_workitem_id 1
		.amdhsa_next_free_vgpr 18
		.amdhsa_next_free_sgpr 74
		.amdhsa_reserve_vcc 1
		.amdhsa_reserve_flat_scratch 0
		.amdhsa_float_round_mode_32 0
		.amdhsa_float_round_mode_16_64 0
		.amdhsa_float_denorm_mode_32 3
		.amdhsa_float_denorm_mode_16_64 3
		.amdhsa_dx10_clamp 1
		.amdhsa_ieee_mode 1
		.amdhsa_fp16_overflow 0
		.amdhsa_workgroup_processor_mode 1
		.amdhsa_memory_ordered 1
		.amdhsa_forward_progress 1
		.amdhsa_shared_vgpr_count 0
		.amdhsa_exception_fp_ieee_invalid_op 0
		.amdhsa_exception_fp_denorm_src 0
		.amdhsa_exception_fp_ieee_div_zero 0
		.amdhsa_exception_fp_ieee_overflow 0
		.amdhsa_exception_fp_ieee_underflow 0
		.amdhsa_exception_fp_ieee_inexact 0
		.amdhsa_exception_int_div_zero 0
	.end_amdhsa_kernel
	.section	.text._ZL18solve_tri_f32_fastILi64ELi10EEvPKfS1_Pf15HIP_vector_typeIjLj3EEmmmmmmii,"axG",@progbits,_ZL18solve_tri_f32_fastILi64ELi10EEvPKfS1_Pf15HIP_vector_typeIjLj3EEmmmmmmii,comdat
.Lfunc_end5:
	.size	_ZL18solve_tri_f32_fastILi64ELi10EEvPKfS1_Pf15HIP_vector_typeIjLj3EEmmmmmmii, .Lfunc_end5-_ZL18solve_tri_f32_fastILi64ELi10EEvPKfS1_Pf15HIP_vector_typeIjLj3EEmmmmmmii
                                        ; -- End function
	.set _ZL18solve_tri_f32_fastILi64ELi10EEvPKfS1_Pf15HIP_vector_typeIjLj3EEmmmmmmii.num_vgpr, 18
	.set _ZL18solve_tri_f32_fastILi64ELi10EEvPKfS1_Pf15HIP_vector_typeIjLj3EEmmmmmmii.num_agpr, 0
	.set _ZL18solve_tri_f32_fastILi64ELi10EEvPKfS1_Pf15HIP_vector_typeIjLj3EEmmmmmmii.numbered_sgpr, 74
	.set _ZL18solve_tri_f32_fastILi64ELi10EEvPKfS1_Pf15HIP_vector_typeIjLj3EEmmmmmmii.num_named_barrier, 0
	.set _ZL18solve_tri_f32_fastILi64ELi10EEvPKfS1_Pf15HIP_vector_typeIjLj3EEmmmmmmii.private_seg_size, 0
	.set _ZL18solve_tri_f32_fastILi64ELi10EEvPKfS1_Pf15HIP_vector_typeIjLj3EEmmmmmmii.uses_vcc, 1
	.set _ZL18solve_tri_f32_fastILi64ELi10EEvPKfS1_Pf15HIP_vector_typeIjLj3EEmmmmmmii.uses_flat_scratch, 0
	.set _ZL18solve_tri_f32_fastILi64ELi10EEvPKfS1_Pf15HIP_vector_typeIjLj3EEmmmmmmii.has_dyn_sized_stack, 0
	.set _ZL18solve_tri_f32_fastILi64ELi10EEvPKfS1_Pf15HIP_vector_typeIjLj3EEmmmmmmii.has_recursion, 0
	.set _ZL18solve_tri_f32_fastILi64ELi10EEvPKfS1_Pf15HIP_vector_typeIjLj3EEmmmmmmii.has_indirect_call, 0
	.section	.AMDGPU.csdata,"",@progbits
; Kernel info:
; codeLenInByte = 16084
; TotalNumSgprs: 76
; NumVgprs: 18
; ScratchSize: 0
; MemoryBound: 0
; FloatMode: 240
; IeeeMode: 1
; LDSByteSize: 16384 bytes/workgroup (compile time only)
; SGPRBlocks: 0
; VGPRBlocks: 2
; NumSGPRsForWavesPerEU: 76
; NumVGPRsForWavesPerEU: 18
; Occupancy: 16
; WaveLimiterHint : 0
; COMPUTE_PGM_RSRC2:SCRATCH_EN: 0
; COMPUTE_PGM_RSRC2:USER_SGPR: 6
; COMPUTE_PGM_RSRC2:TRAP_HANDLER: 0
; COMPUTE_PGM_RSRC2:TGID_X_EN: 1
; COMPUTE_PGM_RSRC2:TGID_Y_EN: 0
; COMPUTE_PGM_RSRC2:TGID_Z_EN: 0
; COMPUTE_PGM_RSRC2:TIDIG_COMP_CNT: 1
	.section	.text._ZL18solve_tri_f32_fastILi64ELi8EEvPKfS1_Pf15HIP_vector_typeIjLj3EEmmmmmmii,"axG",@progbits,_ZL18solve_tri_f32_fastILi64ELi8EEvPKfS1_Pf15HIP_vector_typeIjLj3EEmmmmmmii,comdat
	.globl	_ZL18solve_tri_f32_fastILi64ELi8EEvPKfS1_Pf15HIP_vector_typeIjLj3EEmmmmmmii ; -- Begin function _ZL18solve_tri_f32_fastILi64ELi8EEvPKfS1_Pf15HIP_vector_typeIjLj3EEmmmmmmii
	.p2align	8
	.type	_ZL18solve_tri_f32_fastILi64ELi8EEvPKfS1_Pf15HIP_vector_typeIjLj3EEmmmmmmii,@function
_ZL18solve_tri_f32_fastILi64ELi8EEvPKfS1_Pf15HIP_vector_typeIjLj3EEmmmmmmii: ; @_ZL18solve_tri_f32_fastILi64ELi8EEvPKfS1_Pf15HIP_vector_typeIjLj3EEmmmmmmii
; %bb.0:
	s_mov_b32 s0, exec_lo
	v_cmpx_gt_u32_e32 8, v1
	s_cbranch_execz .LBB6_293
; %bb.1:
	s_clause 0x3
	s_load_dwordx4 s[0:3], s[4:5], 0x18
	s_load_dwordx8 s[8:15], s[4:5], 0x28
	s_load_dwordx2 s[16:17], s[4:5], 0x0
	s_load_dword s7, s[4:5], 0x6c
	s_waitcnt lgkmcnt(0)
	s_mul_hi_u32 s0, s0, s6
	s_add_i32 s0, s6, s0
	s_lshr_b32 s67, s0, s1
	s_mul_i32 s0, s67, s2
	s_mul_i32 s3, s11, s67
	s_sub_i32 s72, s6, s0
	s_mul_hi_u32 s6, s10, s67
	s_mul_i32 s1, s9, s72
	s_mul_hi_u32 s2, s8, s72
	s_mul_i32 s0, s8, s72
	s_add_i32 s1, s2, s1
	s_mul_i32 s2, s10, s67
	s_lshl_b64 s[0:1], s[0:1], 2
	s_add_u32 s8, s16, s0
	s_addc_u32 s9, s17, s1
	s_add_i32 s3, s6, s3
	s_lshl_b64 s[0:1], s[2:3], 2
	s_add_u32 s0, s8, s0
	s_addc_u32 s1, s9, s1
	s_and_b32 s2, s7, 0xffff
	v_mad_u32_u24 v3, v1, s2, v0
	s_mov_b32 s2, exec_lo
	v_lshlrev_b32_e32 v2, 2, v3
	v_cmpx_gt_u32_e32 0x1000, v3
	s_cbranch_execz .LBB6_3
; %bb.2:
	global_load_dword v4, v2, s[0:1]
	s_waitcnt vmcnt(0)
	ds_write_b32 v2, v4
.LBB6_3:
	s_or_b32 exec_lo, exec_lo, s2
	s_mov_b32 s2, exec_lo
	v_cmpx_gt_u32_e32 0xf00, v3
	s_cbranch_execz .LBB6_5
; %bb.4:
	global_load_dword v4, v2, s[0:1] offset:1024
	s_waitcnt vmcnt(0)
	ds_write_b32 v2, v4 offset:1024
.LBB6_5:
	s_or_b32 exec_lo, exec_lo, s2
	s_mov_b32 s2, exec_lo
	v_cmpx_gt_u32_e32 0xe00, v3
	s_cbranch_execz .LBB6_7
; %bb.6:
	v_add_nc_u32_e32 v4, 0x800, v2
	global_load_dword v4, v4, s[0:1]
	s_waitcnt vmcnt(0)
	ds_write_b32 v2, v4 offset:2048
.LBB6_7:
	s_or_b32 exec_lo, exec_lo, s2
	s_mov_b32 s2, exec_lo
	v_cmpx_gt_u32_e32 0xd00, v3
	s_cbranch_execz .LBB6_9
; %bb.8:
	v_add_nc_u32_e32 v4, 0xc00, v2
	global_load_dword v4, v4, s[0:1]
	s_waitcnt vmcnt(0)
	ds_write_b32 v2, v4 offset:3072
.LBB6_9:
	;; [unrolled: 10-line block ×6, first 2 shown]
	s_or_b32 exec_lo, exec_lo, s2
	s_mov_b32 s2, exec_lo
	v_cmpx_gt_u32_e32 0x800, v3
	s_cbranch_execz .LBB6_19
; %bb.18:
	v_or_b32_e32 v4, 0x2000, v2
	global_load_dword v4, v4, s[0:1]
	s_waitcnt vmcnt(0)
	ds_write_b32 v2, v4 offset:8192
.LBB6_19:
	s_or_b32 exec_lo, exec_lo, s2
	s_mov_b32 s2, exec_lo
	v_cmpx_gt_u32_e32 0x700, v3
	s_cbranch_execz .LBB6_21
; %bb.20:
	v_add_nc_u32_e32 v4, 0x2400, v2
	global_load_dword v4, v4, s[0:1]
	s_waitcnt vmcnt(0)
	ds_write_b32 v2, v4 offset:9216
.LBB6_21:
	s_or_b32 exec_lo, exec_lo, s2
	s_mov_b32 s2, exec_lo
	v_cmpx_gt_u32_e32 0x600, v3
	s_cbranch_execz .LBB6_23
; %bb.22:
	v_add_nc_u32_e32 v4, 0x2800, v2
	global_load_dword v4, v4, s[0:1]
	s_waitcnt vmcnt(0)
	ds_write_b32 v2, v4 offset:10240
.LBB6_23:
	;; [unrolled: 10-line block ×3, first 2 shown]
	s_or_b32 exec_lo, exec_lo, s2
	s_mov_b32 s2, exec_lo
	v_cmpx_gt_u32_e32 0x400, v3
	s_cbranch_execz .LBB6_27
; %bb.26:
	v_or_b32_e32 v4, 0x3000, v2
	global_load_dword v4, v4, s[0:1]
	s_waitcnt vmcnt(0)
	ds_write_b32 v2, v4 offset:12288
.LBB6_27:
	s_or_b32 exec_lo, exec_lo, s2
	s_load_dwordx4 s[68:71], s[4:5], 0x48
	s_mov_b32 s2, exec_lo
	v_cmpx_gt_u32_e32 0x300, v3
	s_cbranch_execz .LBB6_29
; %bb.28:
	v_add_nc_u32_e32 v4, 0x3400, v2
	global_load_dword v4, v4, s[0:1]
	s_waitcnt vmcnt(0)
	ds_write_b32 v2, v4 offset:13312
.LBB6_29:
	s_or_b32 exec_lo, exec_lo, s2
	s_load_dwordx2 s[2:3], s[4:5], 0x8
	s_mov_b32 s6, exec_lo
	v_cmpx_gt_u32_e32 0x200, v3
	s_cbranch_execz .LBB6_31
; %bb.30:
	v_or_b32_e32 v4, 0x3800, v2
	global_load_dword v4, v4, s[0:1]
	s_waitcnt vmcnt(0)
	ds_write_b32 v2, v4 offset:14336
.LBB6_31:
	s_or_b32 exec_lo, exec_lo, s6
	s_mov_b32 s6, exec_lo
	v_cmpx_gt_u32_e32 0x100, v3
	s_cbranch_execz .LBB6_33
; %bb.32:
	v_or_b32_e32 v3, 0x3c00, v2
	global_load_dword v3, v3, s[0:1]
	s_waitcnt vmcnt(0)
	ds_write_b32 v2, v3 offset:15360
.LBB6_33:
	s_or_b32 exec_lo, exec_lo, s6
	s_mul_i32 s0, s13, s72
	s_mul_hi_u32 s1, s12, s72
	s_mul_i32 s6, s15, s67
	s_add_i32 s1, s1, s0
	s_mul_i32 s0, s12, s72
	s_mul_hi_u32 s7, s14, s67
	s_lshl_b64 s[0:1], s[0:1], 2
	s_add_i32 s7, s7, s6
	s_mul_i32 s6, s14, s67
	s_waitcnt lgkmcnt(0)
	s_add_u32 s2, s2, s0
	s_addc_u32 s3, s3, s1
	s_lshl_b64 s[0:1], s[6:7], 2
	v_mov_b32_e32 v10, 0
	s_add_u32 s2, s2, s0
	v_cmp_gt_u32_e64 s0, 64, v0
	v_lshlrev_b32_e32 v1, 2, v1
	v_mov_b32_e32 v9, 0
	s_addc_u32 s3, s3, s1
	s_barrier
	buffer_gl0_inv
	s_and_saveexec_b32 s1, s0
	s_cbranch_execz .LBB6_35
; %bb.34:
	v_lshl_or_b32 v2, v0, 5, v1
	global_load_dword v9, v2, s[2:3]
.LBB6_35:
	s_or_b32 exec_lo, exec_lo, s1
	v_add_nc_u32_e32 v2, 32, v0
	v_cmp_gt_u32_e64 s1, 32, v0
	s_and_saveexec_b32 s6, s1
	s_cbranch_execz .LBB6_37
; %bb.36:
	v_lshl_or_b32 v3, v2, 5, v1
	global_load_dword v10, v3, s[2:3]
.LBB6_37:
	s_or_b32 exec_lo, exec_lo, s6
	v_cmp_eq_u32_e64 s2, 0, v0
	s_and_saveexec_b32 s3, s2
	s_cbranch_execz .LBB6_39
; %bb.38:
	v_mov_b32_e32 v3, 0
	ds_read_b32 v3, v3
	s_waitcnt vmcnt(0) lgkmcnt(0)
	v_div_scale_f32 v4, null, v3, v3, v9
	v_rcp_f32_e32 v5, v4
	v_fma_f32 v6, -v4, v5, 1.0
	v_fmac_f32_e32 v5, v6, v5
	v_div_scale_f32 v6, vcc_lo, v9, v3, v9
	v_mul_f32_e32 v7, v6, v5
	v_fma_f32 v8, -v4, v7, v6
	v_fmac_f32_e32 v7, v8, v5
	v_fma_f32 v4, -v4, v7, v6
	v_div_fmas_f32 v4, v4, v5, v7
	v_div_fixup_f32 v9, v4, v3, v9
.LBB6_39:
	s_or_b32 exec_lo, exec_lo, s3
	v_lshlrev_b32_e32 v3, 2, v0
	v_mov_b32_e32 v6, 0
	s_and_saveexec_b32 s3, s2
	s_cbranch_execz .LBB6_41
; %bb.40:
	ds_read_b32 v4, v3 offset:256
	s_waitcnt vmcnt(0) lgkmcnt(0)
	v_fma_f32 v6, v9, v4, 0
.LBB6_41:
	s_or_b32 exec_lo, exec_lo, s3
	v_mbcnt_lo_u32_b32 v8, -1, 0
	v_cmp_eq_u32_e64 s37, 1, v0
	v_xor_b32_e32 v4, 16, v8
	v_xor_b32_e32 v5, 8, v8
	;; [unrolled: 1-line block ×3, first 2 shown]
	v_cmp_gt_i32_e32 vcc_lo, 32, v4
	v_cndmask_b32_e32 v4, v8, v4, vcc_lo
	v_cmp_gt_i32_e32 vcc_lo, 32, v5
	v_lshlrev_b32_e32 v4, 2, v4
	v_cndmask_b32_e32 v5, v8, v5, vcc_lo
	ds_bpermute_b32 v7, v4, v6
	v_lshlrev_b32_e32 v5, 2, v5
	s_waitcnt lgkmcnt(0)
	v_add_f32_e32 v7, v6, v7
	v_xor_b32_e32 v6, 4, v8
	ds_bpermute_b32 v11, v5, v7
	v_cmp_gt_i32_e32 vcc_lo, 32, v6
	v_cndmask_b32_e32 v6, v8, v6, vcc_lo
	v_lshlrev_b32_e32 v6, 2, v6
	s_waitcnt lgkmcnt(0)
	v_add_f32_e32 v11, v7, v11
	v_xor_b32_e32 v7, 2, v8
	ds_bpermute_b32 v12, v6, v11
	v_cmp_gt_i32_e32 vcc_lo, 32, v7
	v_cndmask_b32_e32 v7, v8, v7, vcc_lo
	v_cmp_gt_i32_e32 vcc_lo, 32, v13
	v_lshlrev_b32_e32 v7, 2, v7
	v_cndmask_b32_e32 v8, v8, v13, vcc_lo
	v_lshlrev_b32_e32 v8, 2, v8
	s_waitcnt lgkmcnt(0)
	v_add_f32_e32 v11, v11, v12
	ds_bpermute_b32 v12, v7, v11
	s_waitcnt lgkmcnt(0)
	v_add_f32_e32 v11, v11, v12
	ds_bpermute_b32 v12, v8, v11
	s_and_saveexec_b32 s3, s37
	s_cbranch_execz .LBB6_43
; %bb.42:
	v_mov_b32_e32 v13, 0
	s_waitcnt lgkmcnt(0)
	v_add_f32_e32 v11, v11, v12
	ds_read_b32 v13, v13 offset:260
	s_waitcnt vmcnt(0)
	v_sub_f32_e32 v9, v9, v11
	s_waitcnt lgkmcnt(0)
	v_div_scale_f32 v11, null, v13, v13, v9
	v_rcp_f32_e32 v12, v11
	v_fma_f32 v14, -v11, v12, 1.0
	v_fmac_f32_e32 v12, v14, v12
	v_div_scale_f32 v14, vcc_lo, v9, v13, v9
	v_mul_f32_e32 v15, v14, v12
	v_fma_f32 v16, -v11, v15, v14
	v_fmac_f32_e32 v15, v16, v12
	v_fma_f32 v11, -v11, v15, v14
	v_div_fmas_f32 v11, v11, v12, v15
	v_div_fixup_f32 v9, v11, v13, v9
.LBB6_43:
	s_or_b32 exec_lo, exec_lo, s3
	v_cmp_gt_u32_e64 s7, 2, v0
	v_mov_b32_e32 v11, 0
	s_and_saveexec_b32 s3, s7
	s_cbranch_execz .LBB6_45
; %bb.44:
	ds_read_b32 v11, v3 offset:512
	s_waitcnt vmcnt(0) lgkmcnt(0)
	v_fma_f32 v11, v9, v11, 0
.LBB6_45:
	s_or_b32 exec_lo, exec_lo, s3
	s_waitcnt lgkmcnt(0)
	ds_bpermute_b32 v12, v4, v11
	v_cmp_eq_u32_e64 s38, 2, v0
	s_waitcnt lgkmcnt(0)
	v_add_f32_e32 v11, v11, v12
	ds_bpermute_b32 v12, v5, v11
	s_waitcnt lgkmcnt(0)
	v_add_f32_e32 v11, v11, v12
	ds_bpermute_b32 v12, v6, v11
	s_waitcnt lgkmcnt(0)
	v_add_f32_e32 v11, v11, v12
	ds_bpermute_b32 v12, v7, v11
	s_waitcnt lgkmcnt(0)
	v_add_f32_e32 v11, v11, v12
	ds_bpermute_b32 v12, v8, v11
	s_and_saveexec_b32 s3, s38
	s_cbranch_execz .LBB6_47
; %bb.46:
	v_mov_b32_e32 v13, 0
	s_waitcnt lgkmcnt(0)
	v_add_f32_e32 v11, v11, v12
	ds_read_b32 v13, v13 offset:520
	s_waitcnt vmcnt(0)
	v_sub_f32_e32 v9, v9, v11
	s_waitcnt lgkmcnt(0)
	v_div_scale_f32 v11, null, v13, v13, v9
	v_rcp_f32_e32 v12, v11
	v_fma_f32 v14, -v11, v12, 1.0
	v_fmac_f32_e32 v12, v14, v12
	v_div_scale_f32 v14, vcc_lo, v9, v13, v9
	v_mul_f32_e32 v15, v14, v12
	v_fma_f32 v16, -v11, v15, v14
	v_fmac_f32_e32 v15, v16, v12
	v_fma_f32 v11, -v11, v15, v14
	v_div_fmas_f32 v11, v11, v12, v15
	v_div_fixup_f32 v9, v11, v13, v9
.LBB6_47:
	s_or_b32 exec_lo, exec_lo, s3
	v_cmp_gt_u32_e64 s8, 3, v0
	v_mov_b32_e32 v11, 0
	s_and_saveexec_b32 s3, s8
	s_cbranch_execz .LBB6_49
; %bb.48:
	ds_read_b32 v11, v3 offset:768
	s_waitcnt vmcnt(0) lgkmcnt(0)
	v_fma_f32 v11, v9, v11, 0
.LBB6_49:
	s_or_b32 exec_lo, exec_lo, s3
	s_waitcnt lgkmcnt(0)
	ds_bpermute_b32 v12, v4, v11
	v_cmp_eq_u32_e64 s39, 3, v0
	s_waitcnt lgkmcnt(0)
	v_add_f32_e32 v11, v11, v12
	ds_bpermute_b32 v12, v5, v11
	s_waitcnt lgkmcnt(0)
	v_add_f32_e32 v11, v11, v12
	ds_bpermute_b32 v12, v6, v11
	;; [unrolled: 48-line block ×30, first 2 shown]
	s_waitcnt lgkmcnt(0)
	v_add_f32_e32 v11, v11, v12
	ds_bpermute_b32 v12, v7, v11
	s_waitcnt lgkmcnt(0)
	v_add_f32_e32 v11, v11, v12
	ds_bpermute_b32 v12, v8, v11
	s_and_saveexec_b32 s73, s6
	s_cbranch_execz .LBB6_163
; %bb.162:
	v_mov_b32_e32 v13, 0
	s_waitcnt lgkmcnt(0)
	v_add_f32_e32 v11, v11, v12
	ds_read_b32 v13, v13 offset:8060
	s_waitcnt vmcnt(0)
	v_sub_f32_e32 v9, v9, v11
	s_waitcnt lgkmcnt(0)
	v_div_scale_f32 v11, null, v13, v13, v9
	v_rcp_f32_e32 v12, v11
	v_fma_f32 v14, -v11, v12, 1.0
	v_fmac_f32_e32 v12, v14, v12
	v_div_scale_f32 v14, vcc_lo, v9, v13, v9
	v_mul_f32_e32 v15, v14, v12
	v_fma_f32 v16, -v11, v15, v14
	v_fmac_f32_e32 v15, v16, v12
	v_fma_f32 v11, -v11, v15, v14
	v_div_fmas_f32 v11, v11, v12, v15
	v_div_fixup_f32 v9, v11, v13, v9
.LBB6_163:
	s_or_b32 exec_lo, exec_lo, s73
	ds_read_b32 v11, v3 offset:8192
	s_waitcnt vmcnt(0) lgkmcnt(0)
	v_mul_f32_e32 v12, v9, v11
	ds_bpermute_b32 v12, v4, v12
	s_waitcnt lgkmcnt(0)
	v_fmac_f32_e32 v12, v9, v11
	ds_bpermute_b32 v11, v5, v12
	s_waitcnt lgkmcnt(0)
	v_add_f32_e32 v11, v12, v11
	ds_bpermute_b32 v12, v6, v11
	s_waitcnt lgkmcnt(0)
	v_add_f32_e32 v11, v11, v12
	ds_bpermute_b32 v12, v7, v11
	s_waitcnt lgkmcnt(0)
	v_add_f32_e32 v11, v11, v12
	ds_bpermute_b32 v12, v8, v11
	s_and_saveexec_b32 s73, s2
	s_cbranch_execz .LBB6_165
; %bb.164:
	v_mov_b32_e32 v13, 0
	s_waitcnt lgkmcnt(0)
	v_add_f32_e32 v11, v11, v12
	ds_read_b32 v13, v13 offset:8320
	v_sub_f32_e32 v10, v10, v11
	s_waitcnt lgkmcnt(0)
	v_div_scale_f32 v11, null, v13, v13, v10
	v_rcp_f32_e32 v12, v11
	v_fma_f32 v14, -v11, v12, 1.0
	v_fmac_f32_e32 v12, v14, v12
	v_div_scale_f32 v14, vcc_lo, v10, v13, v10
	v_mul_f32_e32 v15, v14, v12
	v_fma_f32 v16, -v11, v15, v14
	v_fmac_f32_e32 v15, v16, v12
	v_fma_f32 v11, -v11, v15, v14
	v_div_fmas_f32 v11, v11, v12, v15
	v_div_fixup_f32 v10, v11, v13, v10
.LBB6_165:
	s_or_b32 exec_lo, exec_lo, s73
	ds_read_b32 v11, v3 offset:8448
	s_waitcnt lgkmcnt(0)
	v_mul_f32_e32 v11, v9, v11
	s_and_saveexec_b32 s73, s2
	s_cbranch_execz .LBB6_167
; %bb.166:
	ds_read_b32 v12, v3 offset:8576
	s_waitcnt lgkmcnt(0)
	v_fmac_f32_e32 v11, v10, v12
.LBB6_167:
	s_or_b32 exec_lo, exec_lo, s73
	ds_bpermute_b32 v12, v4, v11
	s_waitcnt lgkmcnt(0)
	v_add_f32_e32 v11, v11, v12
	ds_bpermute_b32 v12, v5, v11
	s_waitcnt lgkmcnt(0)
	v_add_f32_e32 v11, v11, v12
	ds_bpermute_b32 v12, v6, v11
	s_waitcnt lgkmcnt(0)
	v_add_f32_e32 v11, v11, v12
	ds_bpermute_b32 v12, v7, v11
	s_waitcnt lgkmcnt(0)
	v_add_f32_e32 v11, v11, v12
	ds_bpermute_b32 v12, v8, v11
	s_and_saveexec_b32 s2, s37
	s_cbranch_execz .LBB6_169
; %bb.168:
	v_mov_b32_e32 v13, 0
	s_waitcnt lgkmcnt(0)
	v_add_f32_e32 v11, v11, v12
	ds_read_b32 v13, v13 offset:8580
	v_sub_f32_e32 v10, v10, v11
	s_waitcnt lgkmcnt(0)
	v_div_scale_f32 v11, null, v13, v13, v10
	v_rcp_f32_e32 v12, v11
	v_fma_f32 v14, -v11, v12, 1.0
	v_fmac_f32_e32 v12, v14, v12
	v_div_scale_f32 v14, vcc_lo, v10, v13, v10
	v_mul_f32_e32 v15, v14, v12
	v_fma_f32 v16, -v11, v15, v14
	v_fmac_f32_e32 v15, v16, v12
	v_fma_f32 v11, -v11, v15, v14
	v_div_fmas_f32 v11, v11, v12, v15
	v_div_fixup_f32 v10, v11, v13, v10
.LBB6_169:
	s_or_b32 exec_lo, exec_lo, s2
	ds_read_b32 v11, v3 offset:8704
	s_waitcnt lgkmcnt(0)
	v_mul_f32_e32 v11, v9, v11
	s_and_saveexec_b32 s2, s7
	s_cbranch_execz .LBB6_171
; %bb.170:
	ds_read_b32 v12, v3 offset:8832
	s_waitcnt lgkmcnt(0)
	v_fmac_f32_e32 v11, v10, v12
.LBB6_171:
	s_or_b32 exec_lo, exec_lo, s2
	ds_bpermute_b32 v12, v4, v11
	s_waitcnt lgkmcnt(0)
	v_add_f32_e32 v11, v11, v12
	;; [unrolled: 46-line block ×30, first 2 shown]
	ds_bpermute_b32 v12, v5, v11
	s_waitcnt lgkmcnt(0)
	v_add_f32_e32 v11, v11, v12
	ds_bpermute_b32 v12, v6, v11
	s_waitcnt lgkmcnt(0)
	v_add_f32_e32 v11, v11, v12
	;; [unrolled: 3-line block ×3, first 2 shown]
	ds_bpermute_b32 v12, v8, v11
	s_and_saveexec_b32 s2, s66
	s_cbranch_execz .LBB6_285
; %bb.284:
	v_mov_b32_e32 v13, 0
	s_waitcnt lgkmcnt(0)
	v_add_f32_e32 v11, v11, v12
	ds_read_b32 v13, v13 offset:16120
	v_sub_f32_e32 v10, v10, v11
	s_waitcnt lgkmcnt(0)
	v_div_scale_f32 v11, null, v13, v13, v10
	v_rcp_f32_e32 v12, v11
	v_fma_f32 v14, -v11, v12, 1.0
	v_fmac_f32_e32 v12, v14, v12
	v_div_scale_f32 v14, vcc_lo, v10, v13, v10
	v_mul_f32_e32 v15, v14, v12
	v_fma_f32 v16, -v11, v15, v14
	v_fmac_f32_e32 v15, v16, v12
	v_fma_f32 v11, -v11, v15, v14
	v_div_fmas_f32 v11, v11, v12, v15
	v_div_fixup_f32 v10, v11, v13, v10
.LBB6_285:
	s_or_b32 exec_lo, exec_lo, s2
	ds_read_b32 v11, v3 offset:16128
	s_load_dwordx2 s[4:5], s[4:5], 0x10
	s_waitcnt lgkmcnt(0)
	v_mul_f32_e32 v11, v9, v11
	s_and_saveexec_b32 s2, s3
	s_cbranch_execz .LBB6_287
; %bb.286:
	ds_read_b32 v3, v3 offset:16256
	s_waitcnt lgkmcnt(0)
	v_fmac_f32_e32 v11, v10, v3
.LBB6_287:
	s_or_b32 exec_lo, exec_lo, s2
	ds_bpermute_b32 v3, v4, v11
	s_waitcnt lgkmcnt(0)
	v_add_f32_e32 v3, v11, v3
	ds_bpermute_b32 v4, v5, v3
	s_waitcnt lgkmcnt(0)
	v_add_f32_e32 v3, v3, v4
	;; [unrolled: 3-line block ×4, first 2 shown]
	ds_bpermute_b32 v4, v8, v3
	s_and_saveexec_b32 s2, s6
	s_cbranch_execz .LBB6_289
; %bb.288:
	v_mov_b32_e32 v5, 0
	s_waitcnt lgkmcnt(0)
	v_add_f32_e32 v3, v3, v4
	ds_read_b32 v5, v5 offset:16380
	v_sub_f32_e32 v3, v10, v3
	s_waitcnt lgkmcnt(0)
	v_div_scale_f32 v4, null, v5, v5, v3
	v_rcp_f32_e32 v6, v4
	v_fma_f32 v7, -v4, v6, 1.0
	v_fmac_f32_e32 v6, v7, v6
	v_div_scale_f32 v7, vcc_lo, v3, v5, v3
	v_mul_f32_e32 v8, v7, v6
	v_fma_f32 v10, -v4, v8, v7
	v_fmac_f32_e32 v8, v10, v6
	v_fma_f32 v4, -v4, v8, v7
	v_div_fmas_f32 v4, v4, v6, v8
	v_div_fixup_f32 v10, v4, v5, v3
.LBB6_289:
	s_or_b32 exec_lo, exec_lo, s2
	s_mul_i32 s2, s69, s72
	s_mul_hi_u32 s3, s68, s72
	s_mul_i32 s6, s71, s67
	s_add_i32 s3, s3, s2
	s_mul_i32 s2, s68, s72
	s_mul_hi_u32 s7, s70, s67
	s_lshl_b64 s[2:3], s[2:3], 2
	s_add_i32 s7, s7, s6
	s_mul_i32 s6, s70, s67
	s_add_u32 s4, s4, s2
	s_addc_u32 s5, s5, s3
	s_lshl_b64 s[2:3], s[6:7], 2
	s_add_u32 s2, s4, s2
	s_addc_u32 s3, s5, s3
	s_and_saveexec_b32 s4, s0
	s_cbranch_execz .LBB6_291
; %bb.290:
	v_lshl_or_b32 v0, v0, 5, v1
	v_cndmask_b32_e64 v3, v10, v9, s1
	global_store_dword v0, v3, s[2:3]
.LBB6_291:
	s_or_b32 exec_lo, exec_lo, s4
	s_and_b32 exec_lo, exec_lo, s1
	s_cbranch_execz .LBB6_293
; %bb.292:
	v_lshl_or_b32 v0, v2, 5, v1
	global_store_dword v0, v10, s[2:3]
.LBB6_293:
	s_endpgm
	.section	.rodata,"a",@progbits
	.p2align	6, 0x0
	.amdhsa_kernel _ZL18solve_tri_f32_fastILi64ELi8EEvPKfS1_Pf15HIP_vector_typeIjLj3EEmmmmmmii
		.amdhsa_group_segment_fixed_size 16384
		.amdhsa_private_segment_fixed_size 0
		.amdhsa_kernarg_size 352
		.amdhsa_user_sgpr_count 6
		.amdhsa_user_sgpr_private_segment_buffer 1
		.amdhsa_user_sgpr_dispatch_ptr 0
		.amdhsa_user_sgpr_queue_ptr 0
		.amdhsa_user_sgpr_kernarg_segment_ptr 1
		.amdhsa_user_sgpr_dispatch_id 0
		.amdhsa_user_sgpr_flat_scratch_init 0
		.amdhsa_user_sgpr_private_segment_size 0
		.amdhsa_wavefront_size32 1
		.amdhsa_uses_dynamic_stack 0
		.amdhsa_system_sgpr_private_segment_wavefront_offset 0
		.amdhsa_system_sgpr_workgroup_id_x 1
		.amdhsa_system_sgpr_workgroup_id_y 0
		.amdhsa_system_sgpr_workgroup_id_z 0
		.amdhsa_system_sgpr_workgroup_info 0
		.amdhsa_system_vgpr_workitem_id 1
		.amdhsa_next_free_vgpr 17
		.amdhsa_next_free_sgpr 74
		.amdhsa_reserve_vcc 1
		.amdhsa_reserve_flat_scratch 0
		.amdhsa_float_round_mode_32 0
		.amdhsa_float_round_mode_16_64 0
		.amdhsa_float_denorm_mode_32 3
		.amdhsa_float_denorm_mode_16_64 3
		.amdhsa_dx10_clamp 1
		.amdhsa_ieee_mode 1
		.amdhsa_fp16_overflow 0
		.amdhsa_workgroup_processor_mode 1
		.amdhsa_memory_ordered 1
		.amdhsa_forward_progress 1
		.amdhsa_shared_vgpr_count 0
		.amdhsa_exception_fp_ieee_invalid_op 0
		.amdhsa_exception_fp_denorm_src 0
		.amdhsa_exception_fp_ieee_div_zero 0
		.amdhsa_exception_fp_ieee_overflow 0
		.amdhsa_exception_fp_ieee_underflow 0
		.amdhsa_exception_fp_ieee_inexact 0
		.amdhsa_exception_int_div_zero 0
	.end_amdhsa_kernel
	.section	.text._ZL18solve_tri_f32_fastILi64ELi8EEvPKfS1_Pf15HIP_vector_typeIjLj3EEmmmmmmii,"axG",@progbits,_ZL18solve_tri_f32_fastILi64ELi8EEvPKfS1_Pf15HIP_vector_typeIjLj3EEmmmmmmii,comdat
.Lfunc_end6:
	.size	_ZL18solve_tri_f32_fastILi64ELi8EEvPKfS1_Pf15HIP_vector_typeIjLj3EEmmmmmmii, .Lfunc_end6-_ZL18solve_tri_f32_fastILi64ELi8EEvPKfS1_Pf15HIP_vector_typeIjLj3EEmmmmmmii
                                        ; -- End function
	.set _ZL18solve_tri_f32_fastILi64ELi8EEvPKfS1_Pf15HIP_vector_typeIjLj3EEmmmmmmii.num_vgpr, 17
	.set _ZL18solve_tri_f32_fastILi64ELi8EEvPKfS1_Pf15HIP_vector_typeIjLj3EEmmmmmmii.num_agpr, 0
	.set _ZL18solve_tri_f32_fastILi64ELi8EEvPKfS1_Pf15HIP_vector_typeIjLj3EEmmmmmmii.numbered_sgpr, 74
	.set _ZL18solve_tri_f32_fastILi64ELi8EEvPKfS1_Pf15HIP_vector_typeIjLj3EEmmmmmmii.num_named_barrier, 0
	.set _ZL18solve_tri_f32_fastILi64ELi8EEvPKfS1_Pf15HIP_vector_typeIjLj3EEmmmmmmii.private_seg_size, 0
	.set _ZL18solve_tri_f32_fastILi64ELi8EEvPKfS1_Pf15HIP_vector_typeIjLj3EEmmmmmmii.uses_vcc, 1
	.set _ZL18solve_tri_f32_fastILi64ELi8EEvPKfS1_Pf15HIP_vector_typeIjLj3EEmmmmmmii.uses_flat_scratch, 0
	.set _ZL18solve_tri_f32_fastILi64ELi8EEvPKfS1_Pf15HIP_vector_typeIjLj3EEmmmmmmii.has_dyn_sized_stack, 0
	.set _ZL18solve_tri_f32_fastILi64ELi8EEvPKfS1_Pf15HIP_vector_typeIjLj3EEmmmmmmii.has_recursion, 0
	.set _ZL18solve_tri_f32_fastILi64ELi8EEvPKfS1_Pf15HIP_vector_typeIjLj3EEmmmmmmii.has_indirect_call, 0
	.section	.AMDGPU.csdata,"",@progbits
; Kernel info:
; codeLenInByte = 16224
; TotalNumSgprs: 76
; NumVgprs: 17
; ScratchSize: 0
; MemoryBound: 0
; FloatMode: 240
; IeeeMode: 1
; LDSByteSize: 16384 bytes/workgroup (compile time only)
; SGPRBlocks: 0
; VGPRBlocks: 2
; NumSGPRsForWavesPerEU: 76
; NumVGPRsForWavesPerEU: 17
; Occupancy: 16
; WaveLimiterHint : 0
; COMPUTE_PGM_RSRC2:SCRATCH_EN: 0
; COMPUTE_PGM_RSRC2:USER_SGPR: 6
; COMPUTE_PGM_RSRC2:TRAP_HANDLER: 0
; COMPUTE_PGM_RSRC2:TGID_X_EN: 1
; COMPUTE_PGM_RSRC2:TGID_Y_EN: 0
; COMPUTE_PGM_RSRC2:TGID_Z_EN: 0
; COMPUTE_PGM_RSRC2:TIDIG_COMP_CNT: 1
	.section	.text._ZL18solve_tri_f32_fastILi64ELi6EEvPKfS1_Pf15HIP_vector_typeIjLj3EEmmmmmmii,"axG",@progbits,_ZL18solve_tri_f32_fastILi64ELi6EEvPKfS1_Pf15HIP_vector_typeIjLj3EEmmmmmmii,comdat
	.globl	_ZL18solve_tri_f32_fastILi64ELi6EEvPKfS1_Pf15HIP_vector_typeIjLj3EEmmmmmmii ; -- Begin function _ZL18solve_tri_f32_fastILi64ELi6EEvPKfS1_Pf15HIP_vector_typeIjLj3EEmmmmmmii
	.p2align	8
	.type	_ZL18solve_tri_f32_fastILi64ELi6EEvPKfS1_Pf15HIP_vector_typeIjLj3EEmmmmmmii,@function
_ZL18solve_tri_f32_fastILi64ELi6EEvPKfS1_Pf15HIP_vector_typeIjLj3EEmmmmmmii: ; @_ZL18solve_tri_f32_fastILi64ELi6EEvPKfS1_Pf15HIP_vector_typeIjLj3EEmmmmmmii
; %bb.0:
	s_mov_b32 s0, exec_lo
	v_cmpx_gt_u32_e32 6, v1
	s_cbranch_execz .LBB7_305
; %bb.1:
	s_clause 0x3
	s_load_dwordx4 s[0:3], s[4:5], 0x18
	s_load_dwordx8 s[8:15], s[4:5], 0x28
	s_load_dwordx2 s[16:17], s[4:5], 0x0
	s_load_dword s7, s[4:5], 0x6c
	s_waitcnt lgkmcnt(0)
	s_mul_hi_u32 s0, s0, s6
	s_add_i32 s0, s6, s0
	s_lshr_b32 s67, s0, s1
	s_mul_i32 s0, s67, s2
	s_mul_i32 s3, s11, s67
	s_sub_i32 s72, s6, s0
	s_mul_hi_u32 s6, s10, s67
	s_mul_i32 s1, s9, s72
	s_mul_hi_u32 s2, s8, s72
	s_mul_i32 s0, s8, s72
	s_add_i32 s1, s2, s1
	s_mul_i32 s2, s10, s67
	s_lshl_b64 s[0:1], s[0:1], 2
	s_add_u32 s8, s16, s0
	s_addc_u32 s9, s17, s1
	s_add_i32 s3, s6, s3
	s_lshl_b64 s[0:1], s[2:3], 2
	s_add_u32 s0, s8, s0
	s_addc_u32 s1, s9, s1
	s_and_b32 s2, s7, 0xffff
	v_mad_u32_u24 v3, v1, s2, v0
	s_mov_b32 s2, exec_lo
	v_lshlrev_b32_e32 v2, 2, v3
	v_cmpx_gt_u32_e32 0x1000, v3
	s_cbranch_execz .LBB7_3
; %bb.2:
	global_load_dword v4, v2, s[0:1]
	s_waitcnt vmcnt(0)
	ds_write_b32 v2, v4
.LBB7_3:
	s_or_b32 exec_lo, exec_lo, s2
	s_mov_b32 s2, exec_lo
	v_cmpx_gt_u32_e32 0xf40, v3
	s_cbranch_execz .LBB7_5
; %bb.4:
	global_load_dword v4, v2, s[0:1] offset:768
	s_waitcnt vmcnt(0)
	ds_write_b32 v2, v4 offset:768
.LBB7_5:
	s_or_b32 exec_lo, exec_lo, s2
	s_mov_b32 s2, exec_lo
	v_cmpx_gt_u32_e32 0xe80, v3
	s_cbranch_execz .LBB7_7
; %bb.6:
	global_load_dword v4, v2, s[0:1] offset:1536
	s_waitcnt vmcnt(0)
	ds_write_b32 v2, v4 offset:1536
.LBB7_7:
	s_or_b32 exec_lo, exec_lo, s2
	s_mov_b32 s2, exec_lo
	v_cmpx_gt_u32_e32 0xdc0, v3
	s_cbranch_execz .LBB7_9
; %bb.8:
	v_add_nc_u32_e32 v4, 0x900, v2
	global_load_dword v4, v4, s[0:1]
	s_waitcnt vmcnt(0)
	ds_write_b32 v2, v4 offset:2304
.LBB7_9:
	s_or_b32 exec_lo, exec_lo, s2
	s_mov_b32 s2, exec_lo
	v_cmpx_gt_u32_e32 0xd00, v3
	s_cbranch_execz .LBB7_11
; %bb.10:
	v_add_nc_u32_e32 v4, 0xc00, v2
	global_load_dword v4, v4, s[0:1]
	s_waitcnt vmcnt(0)
	ds_write_b32 v2, v4 offset:3072
.LBB7_11:
	;; [unrolled: 10-line block ×13, first 2 shown]
	s_or_b32 exec_lo, exec_lo, s2
	s_mov_b32 s2, exec_lo
	v_cmpx_gt_u32_e32 0x400, v3
	s_cbranch_execz .LBB7_35
; %bb.34:
	v_or_b32_e32 v4, 0x3000, v2
	global_load_dword v4, v4, s[0:1]
	s_waitcnt vmcnt(0)
	ds_write_b32 v2, v4 offset:12288
.LBB7_35:
	s_or_b32 exec_lo, exec_lo, s2
	s_mov_b32 s2, exec_lo
	v_cmpx_gt_u32_e32 0x340, v3
	s_cbranch_execz .LBB7_37
; %bb.36:
	v_add_nc_u32_e32 v4, 0x3300, v2
	global_load_dword v4, v4, s[0:1]
	s_waitcnt vmcnt(0)
	ds_write_b32 v2, v4 offset:13056
.LBB7_37:
	s_or_b32 exec_lo, exec_lo, s2
	s_mov_b32 s2, exec_lo
	v_cmpx_gt_u32_e32 0x280, v3
	s_cbranch_execz .LBB7_39
; %bb.38:
	v_add_nc_u32_e32 v4, 0x3600, v2
	global_load_dword v4, v4, s[0:1]
	s_waitcnt vmcnt(0)
	ds_write_b32 v2, v4 offset:13824
.LBB7_39:
	s_or_b32 exec_lo, exec_lo, s2
	s_load_dwordx4 s[68:71], s[4:5], 0x48
	s_mov_b32 s2, exec_lo
	v_cmpx_gt_u32_e32 0x1c0, v3
	s_cbranch_execz .LBB7_41
; %bb.40:
	v_add_nc_u32_e32 v4, 0x3900, v2
	global_load_dword v4, v4, s[0:1]
	s_waitcnt vmcnt(0)
	ds_write_b32 v2, v4 offset:14592
.LBB7_41:
	s_or_b32 exec_lo, exec_lo, s2
	s_load_dwordx2 s[2:3], s[4:5], 0x8
	s_mov_b32 s6, exec_lo
	v_cmpx_gt_u32_e32 0x100, v3
	s_cbranch_execz .LBB7_43
; %bb.42:
	v_or_b32_e32 v4, 0x3c00, v2
	global_load_dword v4, v4, s[0:1]
	s_waitcnt vmcnt(0)
	ds_write_b32 v2, v4 offset:15360
.LBB7_43:
	s_or_b32 exec_lo, exec_lo, s6
	s_mov_b32 s6, exec_lo
	v_cmpx_gt_u32_e32 64, v3
	s_cbranch_execz .LBB7_45
; %bb.44:
	v_or_b32_e32 v3, 0x3f00, v2
	global_load_dword v3, v3, s[0:1]
	s_waitcnt vmcnt(0)
	ds_write_b32 v2, v3 offset:16128
.LBB7_45:
	s_or_b32 exec_lo, exec_lo, s6
	s_mul_i32 s0, s13, s72
	s_mul_hi_u32 s1, s12, s72
	s_mul_i32 s6, s15, s67
	s_add_i32 s1, s1, s0
	s_mul_i32 s0, s12, s72
	s_mul_hi_u32 s7, s14, s67
	s_lshl_b64 s[0:1], s[0:1], 2
	s_add_i32 s7, s7, s6
	s_mul_i32 s6, s14, s67
	s_waitcnt lgkmcnt(0)
	s_add_u32 s2, s2, s0
	s_addc_u32 s3, s3, s1
	s_lshl_b64 s[0:1], s[6:7], 2
	v_mov_b32_e32 v11, 0
	s_add_u32 s2, s2, s0
	v_cmp_gt_u32_e64 s0, 64, v0
	v_mul_u32_u24_e32 v2, 6, v0
	v_mov_b32_e32 v10, 0
	s_addc_u32 s3, s3, s1
	s_barrier
	buffer_gl0_inv
	s_and_saveexec_b32 s1, s0
	s_cbranch_execz .LBB7_47
; %bb.46:
	v_add_lshl_u32 v3, v2, v1, 2
	global_load_dword v10, v3, s[2:3]
.LBB7_47:
	s_or_b32 exec_lo, exec_lo, s1
	v_add_nc_u32_e32 v3, 32, v0
	v_cmp_gt_u32_e64 s1, 32, v0
	v_mul_u32_u24_e32 v3, 6, v3
	s_and_saveexec_b32 s6, s1
	s_cbranch_execz .LBB7_49
; %bb.48:
	v_add_lshl_u32 v4, v3, v1, 2
	global_load_dword v11, v4, s[2:3]
.LBB7_49:
	s_or_b32 exec_lo, exec_lo, s6
	v_cmp_eq_u32_e64 s2, 0, v0
	s_and_saveexec_b32 s3, s2
	s_cbranch_execz .LBB7_51
; %bb.50:
	v_mov_b32_e32 v4, 0
	ds_read_b32 v4, v4
	s_waitcnt vmcnt(0) lgkmcnt(0)
	v_div_scale_f32 v5, null, v4, v4, v10
	v_rcp_f32_e32 v6, v5
	v_fma_f32 v7, -v5, v6, 1.0
	v_fmac_f32_e32 v6, v7, v6
	v_div_scale_f32 v7, vcc_lo, v10, v4, v10
	v_mul_f32_e32 v8, v7, v6
	v_fma_f32 v9, -v5, v8, v7
	v_fmac_f32_e32 v8, v9, v6
	v_fma_f32 v5, -v5, v8, v7
	v_div_fmas_f32 v5, v5, v6, v8
	v_div_fixup_f32 v10, v5, v4, v10
.LBB7_51:
	s_or_b32 exec_lo, exec_lo, s3
	v_lshlrev_b32_e32 v4, 2, v0
	v_mov_b32_e32 v7, 0
	s_and_saveexec_b32 s3, s2
	s_cbranch_execz .LBB7_53
; %bb.52:
	ds_read_b32 v5, v4 offset:256
	s_waitcnt vmcnt(0) lgkmcnt(0)
	v_fma_f32 v7, v10, v5, 0
.LBB7_53:
	s_or_b32 exec_lo, exec_lo, s3
	v_mbcnt_lo_u32_b32 v9, -1, 0
	v_cmp_eq_u32_e64 s37, 1, v0
	v_xor_b32_e32 v5, 16, v9
	v_xor_b32_e32 v6, 8, v9
	;; [unrolled: 1-line block ×3, first 2 shown]
	v_cmp_gt_i32_e32 vcc_lo, 32, v5
	v_cndmask_b32_e32 v5, v9, v5, vcc_lo
	v_cmp_gt_i32_e32 vcc_lo, 32, v6
	v_lshlrev_b32_e32 v5, 2, v5
	v_cndmask_b32_e32 v6, v9, v6, vcc_lo
	ds_bpermute_b32 v8, v5, v7
	v_lshlrev_b32_e32 v6, 2, v6
	s_waitcnt lgkmcnt(0)
	v_add_f32_e32 v8, v7, v8
	v_xor_b32_e32 v7, 4, v9
	ds_bpermute_b32 v12, v6, v8
	v_cmp_gt_i32_e32 vcc_lo, 32, v7
	v_cndmask_b32_e32 v7, v9, v7, vcc_lo
	v_lshlrev_b32_e32 v7, 2, v7
	s_waitcnt lgkmcnt(0)
	v_add_f32_e32 v12, v8, v12
	v_xor_b32_e32 v8, 2, v9
	ds_bpermute_b32 v13, v7, v12
	v_cmp_gt_i32_e32 vcc_lo, 32, v8
	v_cndmask_b32_e32 v8, v9, v8, vcc_lo
	v_cmp_gt_i32_e32 vcc_lo, 32, v14
	v_lshlrev_b32_e32 v8, 2, v8
	v_cndmask_b32_e32 v9, v9, v14, vcc_lo
	v_lshlrev_b32_e32 v9, 2, v9
	s_waitcnt lgkmcnt(0)
	v_add_f32_e32 v12, v12, v13
	ds_bpermute_b32 v13, v8, v12
	s_waitcnt lgkmcnt(0)
	v_add_f32_e32 v12, v12, v13
	ds_bpermute_b32 v13, v9, v12
	s_and_saveexec_b32 s3, s37
	s_cbranch_execz .LBB7_55
; %bb.54:
	v_mov_b32_e32 v14, 0
	s_waitcnt lgkmcnt(0)
	v_add_f32_e32 v12, v12, v13
	ds_read_b32 v14, v14 offset:260
	s_waitcnt vmcnt(0)
	v_sub_f32_e32 v10, v10, v12
	s_waitcnt lgkmcnt(0)
	v_div_scale_f32 v12, null, v14, v14, v10
	v_rcp_f32_e32 v13, v12
	v_fma_f32 v15, -v12, v13, 1.0
	v_fmac_f32_e32 v13, v15, v13
	v_div_scale_f32 v15, vcc_lo, v10, v14, v10
	v_mul_f32_e32 v16, v15, v13
	v_fma_f32 v17, -v12, v16, v15
	v_fmac_f32_e32 v16, v17, v13
	v_fma_f32 v12, -v12, v16, v15
	v_div_fmas_f32 v12, v12, v13, v16
	v_div_fixup_f32 v10, v12, v14, v10
.LBB7_55:
	s_or_b32 exec_lo, exec_lo, s3
	v_cmp_gt_u32_e64 s7, 2, v0
	v_mov_b32_e32 v12, 0
	s_and_saveexec_b32 s3, s7
	s_cbranch_execz .LBB7_57
; %bb.56:
	ds_read_b32 v12, v4 offset:512
	s_waitcnt vmcnt(0) lgkmcnt(0)
	v_fma_f32 v12, v10, v12, 0
.LBB7_57:
	s_or_b32 exec_lo, exec_lo, s3
	s_waitcnt lgkmcnt(0)
	ds_bpermute_b32 v13, v5, v12
	v_cmp_eq_u32_e64 s38, 2, v0
	s_waitcnt lgkmcnt(0)
	v_add_f32_e32 v12, v12, v13
	ds_bpermute_b32 v13, v6, v12
	s_waitcnt lgkmcnt(0)
	v_add_f32_e32 v12, v12, v13
	ds_bpermute_b32 v13, v7, v12
	s_waitcnt lgkmcnt(0)
	v_add_f32_e32 v12, v12, v13
	ds_bpermute_b32 v13, v8, v12
	s_waitcnt lgkmcnt(0)
	v_add_f32_e32 v12, v12, v13
	ds_bpermute_b32 v13, v9, v12
	s_and_saveexec_b32 s3, s38
	s_cbranch_execz .LBB7_59
; %bb.58:
	v_mov_b32_e32 v14, 0
	s_waitcnt lgkmcnt(0)
	v_add_f32_e32 v12, v12, v13
	ds_read_b32 v14, v14 offset:520
	s_waitcnt vmcnt(0)
	v_sub_f32_e32 v10, v10, v12
	s_waitcnt lgkmcnt(0)
	v_div_scale_f32 v12, null, v14, v14, v10
	v_rcp_f32_e32 v13, v12
	v_fma_f32 v15, -v12, v13, 1.0
	v_fmac_f32_e32 v13, v15, v13
	v_div_scale_f32 v15, vcc_lo, v10, v14, v10
	v_mul_f32_e32 v16, v15, v13
	v_fma_f32 v17, -v12, v16, v15
	v_fmac_f32_e32 v16, v17, v13
	v_fma_f32 v12, -v12, v16, v15
	v_div_fmas_f32 v12, v12, v13, v16
	v_div_fixup_f32 v10, v12, v14, v10
.LBB7_59:
	s_or_b32 exec_lo, exec_lo, s3
	v_cmp_gt_u32_e64 s8, 3, v0
	v_mov_b32_e32 v12, 0
	s_and_saveexec_b32 s3, s8
	s_cbranch_execz .LBB7_61
; %bb.60:
	ds_read_b32 v12, v4 offset:768
	s_waitcnt vmcnt(0) lgkmcnt(0)
	v_fma_f32 v12, v10, v12, 0
.LBB7_61:
	s_or_b32 exec_lo, exec_lo, s3
	s_waitcnt lgkmcnt(0)
	ds_bpermute_b32 v13, v5, v12
	v_cmp_eq_u32_e64 s39, 3, v0
	s_waitcnt lgkmcnt(0)
	v_add_f32_e32 v12, v12, v13
	ds_bpermute_b32 v13, v6, v12
	s_waitcnt lgkmcnt(0)
	v_add_f32_e32 v12, v12, v13
	ds_bpermute_b32 v13, v7, v12
	;; [unrolled: 48-line block ×30, first 2 shown]
	s_waitcnt lgkmcnt(0)
	v_add_f32_e32 v12, v12, v13
	ds_bpermute_b32 v13, v8, v12
	s_waitcnt lgkmcnt(0)
	v_add_f32_e32 v12, v12, v13
	ds_bpermute_b32 v13, v9, v12
	s_and_saveexec_b32 s73, s6
	s_cbranch_execz .LBB7_175
; %bb.174:
	v_mov_b32_e32 v0, 0
	s_waitcnt lgkmcnt(0)
	v_add_f32_e32 v12, v12, v13
	ds_read_b32 v0, v0 offset:8060
	s_waitcnt vmcnt(0)
	v_sub_f32_e32 v10, v10, v12
	s_waitcnt lgkmcnt(0)
	v_div_scale_f32 v12, null, v0, v0, v10
	v_rcp_f32_e32 v13, v12
	v_fma_f32 v14, -v12, v13, 1.0
	v_fmac_f32_e32 v13, v14, v13
	v_div_scale_f32 v14, vcc_lo, v10, v0, v10
	v_mul_f32_e32 v15, v14, v13
	v_fma_f32 v16, -v12, v15, v14
	v_fmac_f32_e32 v15, v16, v13
	v_fma_f32 v12, -v12, v15, v14
	v_div_fmas_f32 v12, v12, v13, v15
	v_div_fixup_f32 v10, v12, v0, v10
.LBB7_175:
	s_or_b32 exec_lo, exec_lo, s73
	ds_read_b32 v0, v4 offset:8192
	s_waitcnt vmcnt(0) lgkmcnt(0)
	v_mul_f32_e32 v12, v10, v0
	ds_bpermute_b32 v12, v5, v12
	s_waitcnt lgkmcnt(0)
	v_fmac_f32_e32 v12, v10, v0
	ds_bpermute_b32 v0, v6, v12
	s_waitcnt lgkmcnt(0)
	v_add_f32_e32 v0, v12, v0
	ds_bpermute_b32 v12, v7, v0
	s_waitcnt lgkmcnt(0)
	v_add_f32_e32 v0, v0, v12
	ds_bpermute_b32 v12, v8, v0
	s_waitcnt lgkmcnt(0)
	v_add_f32_e32 v0, v0, v12
	ds_bpermute_b32 v12, v9, v0
	s_and_saveexec_b32 s73, s2
	s_cbranch_execz .LBB7_177
; %bb.176:
	v_mov_b32_e32 v13, 0
	s_waitcnt lgkmcnt(0)
	v_add_f32_e32 v0, v0, v12
	ds_read_b32 v13, v13 offset:8320
	v_sub_f32_e32 v0, v11, v0
	s_waitcnt lgkmcnt(0)
	v_div_scale_f32 v11, null, v13, v13, v0
	v_rcp_f32_e32 v12, v11
	v_fma_f32 v14, -v11, v12, 1.0
	v_fmac_f32_e32 v12, v14, v12
	v_div_scale_f32 v14, vcc_lo, v0, v13, v0
	v_mul_f32_e32 v15, v14, v12
	v_fma_f32 v16, -v11, v15, v14
	v_fmac_f32_e32 v15, v16, v12
	v_fma_f32 v11, -v11, v15, v14
	v_div_fmas_f32 v11, v11, v12, v15
	v_div_fixup_f32 v11, v11, v13, v0
.LBB7_177:
	s_or_b32 exec_lo, exec_lo, s73
	ds_read_b32 v0, v4 offset:8448
	s_waitcnt lgkmcnt(0)
	v_mul_f32_e32 v0, v10, v0
	s_and_saveexec_b32 s73, s2
	s_cbranch_execz .LBB7_179
; %bb.178:
	ds_read_b32 v12, v4 offset:8576
	s_waitcnt lgkmcnt(0)
	v_fmac_f32_e32 v0, v11, v12
.LBB7_179:
	s_or_b32 exec_lo, exec_lo, s73
	ds_bpermute_b32 v12, v5, v0
	s_waitcnt lgkmcnt(0)
	v_add_f32_e32 v0, v0, v12
	ds_bpermute_b32 v12, v6, v0
	s_waitcnt lgkmcnt(0)
	v_add_f32_e32 v0, v0, v12
	ds_bpermute_b32 v12, v7, v0
	s_waitcnt lgkmcnt(0)
	v_add_f32_e32 v0, v0, v12
	ds_bpermute_b32 v12, v8, v0
	s_waitcnt lgkmcnt(0)
	v_add_f32_e32 v0, v0, v12
	ds_bpermute_b32 v12, v9, v0
	s_and_saveexec_b32 s2, s37
	s_cbranch_execz .LBB7_181
; %bb.180:
	v_mov_b32_e32 v13, 0
	s_waitcnt lgkmcnt(0)
	v_add_f32_e32 v0, v0, v12
	ds_read_b32 v13, v13 offset:8580
	v_sub_f32_e32 v0, v11, v0
	s_waitcnt lgkmcnt(0)
	v_div_scale_f32 v11, null, v13, v13, v0
	v_rcp_f32_e32 v12, v11
	v_fma_f32 v14, -v11, v12, 1.0
	v_fmac_f32_e32 v12, v14, v12
	v_div_scale_f32 v14, vcc_lo, v0, v13, v0
	v_mul_f32_e32 v15, v14, v12
	v_fma_f32 v16, -v11, v15, v14
	v_fmac_f32_e32 v15, v16, v12
	v_fma_f32 v11, -v11, v15, v14
	v_div_fmas_f32 v11, v11, v12, v15
	v_div_fixup_f32 v11, v11, v13, v0
.LBB7_181:
	s_or_b32 exec_lo, exec_lo, s2
	ds_read_b32 v0, v4 offset:8704
	s_waitcnt lgkmcnt(0)
	v_mul_f32_e32 v0, v10, v0
	s_and_saveexec_b32 s2, s7
	s_cbranch_execz .LBB7_183
; %bb.182:
	ds_read_b32 v12, v4 offset:8832
	s_waitcnt lgkmcnt(0)
	v_fmac_f32_e32 v0, v11, v12
.LBB7_183:
	s_or_b32 exec_lo, exec_lo, s2
	ds_bpermute_b32 v12, v5, v0
	s_waitcnt lgkmcnt(0)
	v_add_f32_e32 v0, v0, v12
	;; [unrolled: 46-line block ×30, first 2 shown]
	ds_bpermute_b32 v12, v6, v0
	s_waitcnt lgkmcnt(0)
	v_add_f32_e32 v0, v0, v12
	ds_bpermute_b32 v12, v7, v0
	s_waitcnt lgkmcnt(0)
	v_add_f32_e32 v0, v0, v12
	;; [unrolled: 3-line block ×3, first 2 shown]
	ds_bpermute_b32 v12, v9, v0
	s_and_saveexec_b32 s2, s66
	s_cbranch_execz .LBB7_297
; %bb.296:
	v_mov_b32_e32 v13, 0
	s_waitcnt lgkmcnt(0)
	v_add_f32_e32 v0, v0, v12
	ds_read_b32 v13, v13 offset:16120
	v_sub_f32_e32 v0, v11, v0
	s_waitcnt lgkmcnt(0)
	v_div_scale_f32 v11, null, v13, v13, v0
	v_rcp_f32_e32 v12, v11
	v_fma_f32 v14, -v11, v12, 1.0
	v_fmac_f32_e32 v12, v14, v12
	v_div_scale_f32 v14, vcc_lo, v0, v13, v0
	v_mul_f32_e32 v15, v14, v12
	v_fma_f32 v16, -v11, v15, v14
	v_fmac_f32_e32 v15, v16, v12
	v_fma_f32 v11, -v11, v15, v14
	v_div_fmas_f32 v11, v11, v12, v15
	v_div_fixup_f32 v11, v11, v13, v0
.LBB7_297:
	s_or_b32 exec_lo, exec_lo, s2
	ds_read_b32 v0, v4 offset:16128
	s_load_dwordx2 s[4:5], s[4:5], 0x10
	s_waitcnt lgkmcnt(0)
	v_mul_f32_e32 v0, v10, v0
	s_and_saveexec_b32 s2, s3
	s_cbranch_execz .LBB7_299
; %bb.298:
	ds_read_b32 v4, v4 offset:16256
	s_waitcnt lgkmcnt(0)
	v_fmac_f32_e32 v0, v11, v4
.LBB7_299:
	s_or_b32 exec_lo, exec_lo, s2
	ds_bpermute_b32 v4, v5, v0
	s_waitcnt lgkmcnt(0)
	v_add_f32_e32 v0, v0, v4
	ds_bpermute_b32 v4, v6, v0
	s_waitcnt lgkmcnt(0)
	v_add_f32_e32 v0, v0, v4
	;; [unrolled: 3-line block ×4, first 2 shown]
	ds_bpermute_b32 v4, v9, v0
	s_and_saveexec_b32 s2, s6
	s_cbranch_execz .LBB7_301
; %bb.300:
	v_mov_b32_e32 v5, 0
	s_waitcnt lgkmcnt(0)
	v_add_f32_e32 v0, v0, v4
	ds_read_b32 v5, v5 offset:16380
	v_sub_f32_e32 v0, v11, v0
	s_waitcnt lgkmcnt(0)
	v_div_scale_f32 v4, null, v5, v5, v0
	v_rcp_f32_e32 v6, v4
	v_fma_f32 v7, -v4, v6, 1.0
	v_fmac_f32_e32 v6, v7, v6
	v_div_scale_f32 v7, vcc_lo, v0, v5, v0
	v_mul_f32_e32 v8, v7, v6
	v_fma_f32 v9, -v4, v8, v7
	v_fmac_f32_e32 v8, v9, v6
	v_fma_f32 v4, -v4, v8, v7
	v_div_fmas_f32 v4, v4, v6, v8
	v_div_fixup_f32 v11, v4, v5, v0
.LBB7_301:
	s_or_b32 exec_lo, exec_lo, s2
	s_mul_i32 s2, s69, s72
	s_mul_hi_u32 s3, s68, s72
	s_mul_i32 s6, s71, s67
	s_add_i32 s3, s3, s2
	s_mul_i32 s2, s68, s72
	s_mul_hi_u32 s7, s70, s67
	s_lshl_b64 s[2:3], s[2:3], 2
	s_add_i32 s7, s7, s6
	s_mul_i32 s6, s70, s67
	s_add_u32 s4, s4, s2
	s_addc_u32 s5, s5, s3
	s_lshl_b64 s[2:3], s[6:7], 2
	s_add_u32 s2, s4, s2
	s_addc_u32 s3, s5, s3
	s_and_saveexec_b32 s4, s0
	s_cbranch_execz .LBB7_303
; %bb.302:
	v_cndmask_b32_e64 v0, v11, v10, s1
	v_add_lshl_u32 v2, v2, v1, 2
	global_store_dword v2, v0, s[2:3]
.LBB7_303:
	s_or_b32 exec_lo, exec_lo, s4
	s_and_b32 exec_lo, exec_lo, s1
	s_cbranch_execz .LBB7_305
; %bb.304:
	v_add_lshl_u32 v0, v3, v1, 2
	global_store_dword v0, v11, s[2:3]
.LBB7_305:
	s_endpgm
	.section	.rodata,"a",@progbits
	.p2align	6, 0x0
	.amdhsa_kernel _ZL18solve_tri_f32_fastILi64ELi6EEvPKfS1_Pf15HIP_vector_typeIjLj3EEmmmmmmii
		.amdhsa_group_segment_fixed_size 16384
		.amdhsa_private_segment_fixed_size 0
		.amdhsa_kernarg_size 352
		.amdhsa_user_sgpr_count 6
		.amdhsa_user_sgpr_private_segment_buffer 1
		.amdhsa_user_sgpr_dispatch_ptr 0
		.amdhsa_user_sgpr_queue_ptr 0
		.amdhsa_user_sgpr_kernarg_segment_ptr 1
		.amdhsa_user_sgpr_dispatch_id 0
		.amdhsa_user_sgpr_flat_scratch_init 0
		.amdhsa_user_sgpr_private_segment_size 0
		.amdhsa_wavefront_size32 1
		.amdhsa_uses_dynamic_stack 0
		.amdhsa_system_sgpr_private_segment_wavefront_offset 0
		.amdhsa_system_sgpr_workgroup_id_x 1
		.amdhsa_system_sgpr_workgroup_id_y 0
		.amdhsa_system_sgpr_workgroup_id_z 0
		.amdhsa_system_sgpr_workgroup_info 0
		.amdhsa_system_vgpr_workitem_id 1
		.amdhsa_next_free_vgpr 18
		.amdhsa_next_free_sgpr 74
		.amdhsa_reserve_vcc 1
		.amdhsa_reserve_flat_scratch 0
		.amdhsa_float_round_mode_32 0
		.amdhsa_float_round_mode_16_64 0
		.amdhsa_float_denorm_mode_32 3
		.amdhsa_float_denorm_mode_16_64 3
		.amdhsa_dx10_clamp 1
		.amdhsa_ieee_mode 1
		.amdhsa_fp16_overflow 0
		.amdhsa_workgroup_processor_mode 1
		.amdhsa_memory_ordered 1
		.amdhsa_forward_progress 1
		.amdhsa_shared_vgpr_count 0
		.amdhsa_exception_fp_ieee_invalid_op 0
		.amdhsa_exception_fp_denorm_src 0
		.amdhsa_exception_fp_ieee_div_zero 0
		.amdhsa_exception_fp_ieee_overflow 0
		.amdhsa_exception_fp_ieee_underflow 0
		.amdhsa_exception_fp_ieee_inexact 0
		.amdhsa_exception_int_div_zero 0
	.end_amdhsa_kernel
	.section	.text._ZL18solve_tri_f32_fastILi64ELi6EEvPKfS1_Pf15HIP_vector_typeIjLj3EEmmmmmmii,"axG",@progbits,_ZL18solve_tri_f32_fastILi64ELi6EEvPKfS1_Pf15HIP_vector_typeIjLj3EEmmmmmmii,comdat
.Lfunc_end7:
	.size	_ZL18solve_tri_f32_fastILi64ELi6EEvPKfS1_Pf15HIP_vector_typeIjLj3EEmmmmmmii, .Lfunc_end7-_ZL18solve_tri_f32_fastILi64ELi6EEvPKfS1_Pf15HIP_vector_typeIjLj3EEmmmmmmii
                                        ; -- End function
	.set _ZL18solve_tri_f32_fastILi64ELi6EEvPKfS1_Pf15HIP_vector_typeIjLj3EEmmmmmmii.num_vgpr, 18
	.set _ZL18solve_tri_f32_fastILi64ELi6EEvPKfS1_Pf15HIP_vector_typeIjLj3EEmmmmmmii.num_agpr, 0
	.set _ZL18solve_tri_f32_fastILi64ELi6EEvPKfS1_Pf15HIP_vector_typeIjLj3EEmmmmmmii.numbered_sgpr, 74
	.set _ZL18solve_tri_f32_fastILi64ELi6EEvPKfS1_Pf15HIP_vector_typeIjLj3EEmmmmmmii.num_named_barrier, 0
	.set _ZL18solve_tri_f32_fastILi64ELi6EEvPKfS1_Pf15HIP_vector_typeIjLj3EEmmmmmmii.private_seg_size, 0
	.set _ZL18solve_tri_f32_fastILi64ELi6EEvPKfS1_Pf15HIP_vector_typeIjLj3EEmmmmmmii.uses_vcc, 1
	.set _ZL18solve_tri_f32_fastILi64ELi6EEvPKfS1_Pf15HIP_vector_typeIjLj3EEmmmmmmii.uses_flat_scratch, 0
	.set _ZL18solve_tri_f32_fastILi64ELi6EEvPKfS1_Pf15HIP_vector_typeIjLj3EEmmmmmmii.has_dyn_sized_stack, 0
	.set _ZL18solve_tri_f32_fastILi64ELi6EEvPKfS1_Pf15HIP_vector_typeIjLj3EEmmmmmmii.has_recursion, 0
	.set _ZL18solve_tri_f32_fastILi64ELi6EEvPKfS1_Pf15HIP_vector_typeIjLj3EEmmmmmmii.has_indirect_call, 0
	.section	.AMDGPU.csdata,"",@progbits
; Kernel info:
; codeLenInByte = 16504
; TotalNumSgprs: 76
; NumVgprs: 18
; ScratchSize: 0
; MemoryBound: 0
; FloatMode: 240
; IeeeMode: 1
; LDSByteSize: 16384 bytes/workgroup (compile time only)
; SGPRBlocks: 0
; VGPRBlocks: 2
; NumSGPRsForWavesPerEU: 76
; NumVGPRsForWavesPerEU: 18
; Occupancy: 16
; WaveLimiterHint : 0
; COMPUTE_PGM_RSRC2:SCRATCH_EN: 0
; COMPUTE_PGM_RSRC2:USER_SGPR: 6
; COMPUTE_PGM_RSRC2:TRAP_HANDLER: 0
; COMPUTE_PGM_RSRC2:TGID_X_EN: 1
; COMPUTE_PGM_RSRC2:TGID_Y_EN: 0
; COMPUTE_PGM_RSRC2:TGID_Z_EN: 0
; COMPUTE_PGM_RSRC2:TIDIG_COMP_CNT: 1
	.section	.text._ZL18solve_tri_f32_fastILi64ELi4EEvPKfS1_Pf15HIP_vector_typeIjLj3EEmmmmmmii,"axG",@progbits,_ZL18solve_tri_f32_fastILi64ELi4EEvPKfS1_Pf15HIP_vector_typeIjLj3EEmmmmmmii,comdat
	.globl	_ZL18solve_tri_f32_fastILi64ELi4EEvPKfS1_Pf15HIP_vector_typeIjLj3EEmmmmmmii ; -- Begin function _ZL18solve_tri_f32_fastILi64ELi4EEvPKfS1_Pf15HIP_vector_typeIjLj3EEmmmmmmii
	.p2align	8
	.type	_ZL18solve_tri_f32_fastILi64ELi4EEvPKfS1_Pf15HIP_vector_typeIjLj3EEmmmmmmii,@function
_ZL18solve_tri_f32_fastILi64ELi4EEvPKfS1_Pf15HIP_vector_typeIjLj3EEmmmmmmii: ; @_ZL18solve_tri_f32_fastILi64ELi4EEvPKfS1_Pf15HIP_vector_typeIjLj3EEmmmmmmii
; %bb.0:
	s_mov_b32 s0, exec_lo
	v_cmpx_gt_u32_e32 4, v1
	s_cbranch_execz .LBB8_325
; %bb.1:
	s_clause 0x3
	s_load_dwordx4 s[0:3], s[4:5], 0x18
	s_load_dwordx8 s[8:15], s[4:5], 0x28
	s_load_dwordx2 s[16:17], s[4:5], 0x0
	s_load_dword s7, s[4:5], 0x6c
	s_waitcnt lgkmcnt(0)
	s_mul_hi_u32 s0, s0, s6
	s_add_i32 s0, s6, s0
	s_lshr_b32 s67, s0, s1
	s_mul_i32 s0, s67, s2
	s_mul_i32 s3, s11, s67
	s_sub_i32 s72, s6, s0
	s_mul_hi_u32 s6, s10, s67
	s_mul_i32 s1, s9, s72
	s_mul_hi_u32 s2, s8, s72
	s_mul_i32 s0, s8, s72
	s_add_i32 s1, s2, s1
	s_mul_i32 s2, s10, s67
	s_lshl_b64 s[0:1], s[0:1], 2
	s_add_u32 s8, s16, s0
	s_addc_u32 s9, s17, s1
	s_add_i32 s3, s6, s3
	s_lshl_b64 s[0:1], s[2:3], 2
	s_add_u32 s0, s8, s0
	s_addc_u32 s1, s9, s1
	s_and_b32 s2, s7, 0xffff
	v_mad_u32_u24 v3, v1, s2, v0
	s_mov_b32 s2, exec_lo
	v_lshlrev_b32_e32 v2, 2, v3
	v_cmpx_gt_u32_e32 0x1000, v3
	s_cbranch_execz .LBB8_3
; %bb.2:
	global_load_dword v4, v2, s[0:1]
	s_waitcnt vmcnt(0)
	ds_write_b32 v2, v4
.LBB8_3:
	s_or_b32 exec_lo, exec_lo, s2
	s_mov_b32 s2, exec_lo
	v_cmpx_gt_u32_e32 0xf80, v3
	s_cbranch_execz .LBB8_5
; %bb.4:
	global_load_dword v4, v2, s[0:1] offset:512
	s_waitcnt vmcnt(0)
	ds_write_b32 v2, v4 offset:512
.LBB8_5:
	s_or_b32 exec_lo, exec_lo, s2
	s_mov_b32 s2, exec_lo
	v_cmpx_gt_u32_e32 0xf00, v3
	s_cbranch_execz .LBB8_7
; %bb.6:
	global_load_dword v4, v2, s[0:1] offset:1024
	s_waitcnt vmcnt(0)
	ds_write_b32 v2, v4 offset:1024
.LBB8_7:
	;; [unrolled: 9-line block ×3, first 2 shown]
	s_or_b32 exec_lo, exec_lo, s2
	s_mov_b32 s2, exec_lo
	v_cmpx_gt_u32_e32 0xe00, v3
	s_cbranch_execz .LBB8_11
; %bb.10:
	v_add_nc_u32_e32 v4, 0x800, v2
	global_load_dword v4, v4, s[0:1]
	s_waitcnt vmcnt(0)
	ds_write_b32 v2, v4 offset:2048
.LBB8_11:
	s_or_b32 exec_lo, exec_lo, s2
	s_mov_b32 s2, exec_lo
	v_cmpx_gt_u32_e32 0xd80, v3
	s_cbranch_execz .LBB8_13
; %bb.12:
	v_add_nc_u32_e32 v4, 0xa00, v2
	global_load_dword v4, v4, s[0:1]
	s_waitcnt vmcnt(0)
	ds_write_b32 v2, v4 offset:2560
.LBB8_13:
	;; [unrolled: 10-line block ×12, first 2 shown]
	s_or_b32 exec_lo, exec_lo, s2
	s_mov_b32 s2, exec_lo
	v_cmpx_gt_u32_e32 0x800, v3
	s_cbranch_execz .LBB8_35
; %bb.34:
	v_or_b32_e32 v4, 0x2000, v2
	global_load_dword v4, v4, s[0:1]
	s_waitcnt vmcnt(0)
	ds_write_b32 v2, v4 offset:8192
.LBB8_35:
	s_or_b32 exec_lo, exec_lo, s2
	s_mov_b32 s2, exec_lo
	v_cmpx_gt_u32_e32 0x780, v3
	s_cbranch_execz .LBB8_37
; %bb.36:
	v_add_nc_u32_e32 v4, 0x2200, v2
	global_load_dword v4, v4, s[0:1]
	s_waitcnt vmcnt(0)
	ds_write_b32 v2, v4 offset:8704
.LBB8_37:
	s_or_b32 exec_lo, exec_lo, s2
	s_mov_b32 s2, exec_lo
	v_cmpx_gt_u32_e32 0x700, v3
	s_cbranch_execz .LBB8_39
; %bb.38:
	v_add_nc_u32_e32 v4, 0x2400, v2
	global_load_dword v4, v4, s[0:1]
	s_waitcnt vmcnt(0)
	ds_write_b32 v2, v4 offset:9216
.LBB8_39:
	;; [unrolled: 10-line block ×7, first 2 shown]
	s_or_b32 exec_lo, exec_lo, s2
	s_mov_b32 s2, exec_lo
	v_cmpx_gt_u32_e32 0x400, v3
	s_cbranch_execz .LBB8_51
; %bb.50:
	v_or_b32_e32 v4, 0x3000, v2
	global_load_dword v4, v4, s[0:1]
	s_waitcnt vmcnt(0)
	ds_write_b32 v2, v4 offset:12288
.LBB8_51:
	s_or_b32 exec_lo, exec_lo, s2
	s_mov_b32 s2, exec_lo
	v_cmpx_gt_u32_e32 0x380, v3
	s_cbranch_execz .LBB8_53
; %bb.52:
	v_add_nc_u32_e32 v4, 0x3200, v2
	global_load_dword v4, v4, s[0:1]
	s_waitcnt vmcnt(0)
	ds_write_b32 v2, v4 offset:12800
.LBB8_53:
	s_or_b32 exec_lo, exec_lo, s2
	s_mov_b32 s2, exec_lo
	v_cmpx_gt_u32_e32 0x300, v3
	s_cbranch_execz .LBB8_55
; %bb.54:
	v_add_nc_u32_e32 v4, 0x3400, v2
	global_load_dword v4, v4, s[0:1]
	s_waitcnt vmcnt(0)
	ds_write_b32 v2, v4 offset:13312
.LBB8_55:
	;; [unrolled: 10-line block ×3, first 2 shown]
	s_or_b32 exec_lo, exec_lo, s2
	s_mov_b32 s2, exec_lo
	v_cmpx_gt_u32_e32 0x200, v3
	s_cbranch_execz .LBB8_59
; %bb.58:
	v_or_b32_e32 v4, 0x3800, v2
	global_load_dword v4, v4, s[0:1]
	s_waitcnt vmcnt(0)
	ds_write_b32 v2, v4 offset:14336
.LBB8_59:
	s_or_b32 exec_lo, exec_lo, s2
	s_load_dwordx4 s[68:71], s[4:5], 0x48
	s_mov_b32 s2, exec_lo
	v_cmpx_gt_u32_e32 0x180, v3
	s_cbranch_execz .LBB8_61
; %bb.60:
	v_add_nc_u32_e32 v4, 0x3a00, v2
	global_load_dword v4, v4, s[0:1]
	s_waitcnt vmcnt(0)
	ds_write_b32 v2, v4 offset:14848
.LBB8_61:
	s_or_b32 exec_lo, exec_lo, s2
	s_load_dwordx2 s[2:3], s[4:5], 0x8
	s_mov_b32 s6, exec_lo
	v_cmpx_gt_u32_e32 0x100, v3
	s_cbranch_execz .LBB8_63
; %bb.62:
	v_or_b32_e32 v4, 0x3c00, v2
	global_load_dword v4, v4, s[0:1]
	s_waitcnt vmcnt(0)
	ds_write_b32 v2, v4 offset:15360
.LBB8_63:
	s_or_b32 exec_lo, exec_lo, s6
	s_mov_b32 s6, exec_lo
	v_cmpx_gt_u32_e32 0x80, v3
	s_cbranch_execz .LBB8_65
; %bb.64:
	v_or_b32_e32 v3, 0x3e00, v2
	global_load_dword v3, v3, s[0:1]
	s_waitcnt vmcnt(0)
	ds_write_b32 v2, v3 offset:15872
.LBB8_65:
	s_or_b32 exec_lo, exec_lo, s6
	s_mul_i32 s0, s13, s72
	s_mul_hi_u32 s1, s12, s72
	s_mul_i32 s6, s15, s67
	s_add_i32 s1, s1, s0
	s_mul_i32 s0, s12, s72
	s_mul_hi_u32 s7, s14, s67
	s_lshl_b64 s[0:1], s[0:1], 2
	s_add_i32 s7, s7, s6
	s_mul_i32 s6, s14, s67
	s_waitcnt lgkmcnt(0)
	s_add_u32 s2, s2, s0
	s_addc_u32 s3, s3, s1
	s_lshl_b64 s[0:1], s[6:7], 2
	v_mov_b32_e32 v10, 0
	s_add_u32 s2, s2, s0
	v_cmp_gt_u32_e64 s0, 64, v0
	v_lshlrev_b32_e32 v1, 2, v1
	v_mov_b32_e32 v9, 0
	s_addc_u32 s3, s3, s1
	s_barrier
	buffer_gl0_inv
	s_and_saveexec_b32 s1, s0
	s_cbranch_execz .LBB8_67
; %bb.66:
	v_lshl_or_b32 v2, v0, 4, v1
	global_load_dword v9, v2, s[2:3]
.LBB8_67:
	s_or_b32 exec_lo, exec_lo, s1
	v_add_nc_u32_e32 v2, 32, v0
	v_cmp_gt_u32_e64 s1, 32, v0
	s_and_saveexec_b32 s6, s1
	s_cbranch_execz .LBB8_69
; %bb.68:
	v_lshl_or_b32 v3, v2, 4, v1
	global_load_dword v10, v3, s[2:3]
.LBB8_69:
	s_or_b32 exec_lo, exec_lo, s6
	v_cmp_eq_u32_e64 s2, 0, v0
	s_and_saveexec_b32 s3, s2
	s_cbranch_execz .LBB8_71
; %bb.70:
	v_mov_b32_e32 v3, 0
	ds_read_b32 v3, v3
	s_waitcnt vmcnt(0) lgkmcnt(0)
	v_div_scale_f32 v4, null, v3, v3, v9
	v_rcp_f32_e32 v5, v4
	v_fma_f32 v6, -v4, v5, 1.0
	v_fmac_f32_e32 v5, v6, v5
	v_div_scale_f32 v6, vcc_lo, v9, v3, v9
	v_mul_f32_e32 v7, v6, v5
	v_fma_f32 v8, -v4, v7, v6
	v_fmac_f32_e32 v7, v8, v5
	v_fma_f32 v4, -v4, v7, v6
	v_div_fmas_f32 v4, v4, v5, v7
	v_div_fixup_f32 v9, v4, v3, v9
.LBB8_71:
	s_or_b32 exec_lo, exec_lo, s3
	v_lshlrev_b32_e32 v3, 2, v0
	v_mov_b32_e32 v6, 0
	s_and_saveexec_b32 s3, s2
	s_cbranch_execz .LBB8_73
; %bb.72:
	ds_read_b32 v4, v3 offset:256
	s_waitcnt vmcnt(0) lgkmcnt(0)
	v_fma_f32 v6, v9, v4, 0
.LBB8_73:
	s_or_b32 exec_lo, exec_lo, s3
	v_mbcnt_lo_u32_b32 v8, -1, 0
	v_cmp_eq_u32_e64 s37, 1, v0
	v_xor_b32_e32 v4, 16, v8
	v_xor_b32_e32 v5, 8, v8
	;; [unrolled: 1-line block ×3, first 2 shown]
	v_cmp_gt_i32_e32 vcc_lo, 32, v4
	v_cndmask_b32_e32 v4, v8, v4, vcc_lo
	v_cmp_gt_i32_e32 vcc_lo, 32, v5
	v_lshlrev_b32_e32 v4, 2, v4
	v_cndmask_b32_e32 v5, v8, v5, vcc_lo
	ds_bpermute_b32 v7, v4, v6
	v_lshlrev_b32_e32 v5, 2, v5
	s_waitcnt lgkmcnt(0)
	v_add_f32_e32 v7, v6, v7
	v_xor_b32_e32 v6, 4, v8
	ds_bpermute_b32 v11, v5, v7
	v_cmp_gt_i32_e32 vcc_lo, 32, v6
	v_cndmask_b32_e32 v6, v8, v6, vcc_lo
	v_lshlrev_b32_e32 v6, 2, v6
	s_waitcnt lgkmcnt(0)
	v_add_f32_e32 v11, v7, v11
	v_xor_b32_e32 v7, 2, v8
	ds_bpermute_b32 v12, v6, v11
	v_cmp_gt_i32_e32 vcc_lo, 32, v7
	v_cndmask_b32_e32 v7, v8, v7, vcc_lo
	v_cmp_gt_i32_e32 vcc_lo, 32, v13
	v_lshlrev_b32_e32 v7, 2, v7
	v_cndmask_b32_e32 v8, v8, v13, vcc_lo
	v_lshlrev_b32_e32 v8, 2, v8
	s_waitcnt lgkmcnt(0)
	v_add_f32_e32 v11, v11, v12
	ds_bpermute_b32 v12, v7, v11
	s_waitcnt lgkmcnt(0)
	v_add_f32_e32 v11, v11, v12
	ds_bpermute_b32 v12, v8, v11
	s_and_saveexec_b32 s3, s37
	s_cbranch_execz .LBB8_75
; %bb.74:
	v_mov_b32_e32 v13, 0
	s_waitcnt lgkmcnt(0)
	v_add_f32_e32 v11, v11, v12
	ds_read_b32 v13, v13 offset:260
	s_waitcnt vmcnt(0)
	v_sub_f32_e32 v9, v9, v11
	s_waitcnt lgkmcnt(0)
	v_div_scale_f32 v11, null, v13, v13, v9
	v_rcp_f32_e32 v12, v11
	v_fma_f32 v14, -v11, v12, 1.0
	v_fmac_f32_e32 v12, v14, v12
	v_div_scale_f32 v14, vcc_lo, v9, v13, v9
	v_mul_f32_e32 v15, v14, v12
	v_fma_f32 v16, -v11, v15, v14
	v_fmac_f32_e32 v15, v16, v12
	v_fma_f32 v11, -v11, v15, v14
	v_div_fmas_f32 v11, v11, v12, v15
	v_div_fixup_f32 v9, v11, v13, v9
.LBB8_75:
	s_or_b32 exec_lo, exec_lo, s3
	v_cmp_gt_u32_e64 s7, 2, v0
	v_mov_b32_e32 v11, 0
	s_and_saveexec_b32 s3, s7
	s_cbranch_execz .LBB8_77
; %bb.76:
	ds_read_b32 v11, v3 offset:512
	s_waitcnt vmcnt(0) lgkmcnt(0)
	v_fma_f32 v11, v9, v11, 0
.LBB8_77:
	s_or_b32 exec_lo, exec_lo, s3
	s_waitcnt lgkmcnt(0)
	ds_bpermute_b32 v12, v4, v11
	v_cmp_eq_u32_e64 s38, 2, v0
	s_waitcnt lgkmcnt(0)
	v_add_f32_e32 v11, v11, v12
	ds_bpermute_b32 v12, v5, v11
	s_waitcnt lgkmcnt(0)
	v_add_f32_e32 v11, v11, v12
	ds_bpermute_b32 v12, v6, v11
	s_waitcnt lgkmcnt(0)
	v_add_f32_e32 v11, v11, v12
	ds_bpermute_b32 v12, v7, v11
	s_waitcnt lgkmcnt(0)
	v_add_f32_e32 v11, v11, v12
	ds_bpermute_b32 v12, v8, v11
	s_and_saveexec_b32 s3, s38
	s_cbranch_execz .LBB8_79
; %bb.78:
	v_mov_b32_e32 v13, 0
	s_waitcnt lgkmcnt(0)
	v_add_f32_e32 v11, v11, v12
	ds_read_b32 v13, v13 offset:520
	s_waitcnt vmcnt(0)
	v_sub_f32_e32 v9, v9, v11
	s_waitcnt lgkmcnt(0)
	v_div_scale_f32 v11, null, v13, v13, v9
	v_rcp_f32_e32 v12, v11
	v_fma_f32 v14, -v11, v12, 1.0
	v_fmac_f32_e32 v12, v14, v12
	v_div_scale_f32 v14, vcc_lo, v9, v13, v9
	v_mul_f32_e32 v15, v14, v12
	v_fma_f32 v16, -v11, v15, v14
	v_fmac_f32_e32 v15, v16, v12
	v_fma_f32 v11, -v11, v15, v14
	v_div_fmas_f32 v11, v11, v12, v15
	v_div_fixup_f32 v9, v11, v13, v9
.LBB8_79:
	s_or_b32 exec_lo, exec_lo, s3
	v_cmp_gt_u32_e64 s8, 3, v0
	v_mov_b32_e32 v11, 0
	s_and_saveexec_b32 s3, s8
	s_cbranch_execz .LBB8_81
; %bb.80:
	ds_read_b32 v11, v3 offset:768
	s_waitcnt vmcnt(0) lgkmcnt(0)
	v_fma_f32 v11, v9, v11, 0
.LBB8_81:
	s_or_b32 exec_lo, exec_lo, s3
	s_waitcnt lgkmcnt(0)
	ds_bpermute_b32 v12, v4, v11
	v_cmp_eq_u32_e64 s39, 3, v0
	s_waitcnt lgkmcnt(0)
	v_add_f32_e32 v11, v11, v12
	ds_bpermute_b32 v12, v5, v11
	s_waitcnt lgkmcnt(0)
	v_add_f32_e32 v11, v11, v12
	ds_bpermute_b32 v12, v6, v11
	;; [unrolled: 48-line block ×30, first 2 shown]
	s_waitcnt lgkmcnt(0)
	v_add_f32_e32 v11, v11, v12
	ds_bpermute_b32 v12, v7, v11
	s_waitcnt lgkmcnt(0)
	v_add_f32_e32 v11, v11, v12
	ds_bpermute_b32 v12, v8, v11
	s_and_saveexec_b32 s73, s6
	s_cbranch_execz .LBB8_195
; %bb.194:
	v_mov_b32_e32 v13, 0
	s_waitcnt lgkmcnt(0)
	v_add_f32_e32 v11, v11, v12
	ds_read_b32 v13, v13 offset:8060
	s_waitcnt vmcnt(0)
	v_sub_f32_e32 v9, v9, v11
	s_waitcnt lgkmcnt(0)
	v_div_scale_f32 v11, null, v13, v13, v9
	v_rcp_f32_e32 v12, v11
	v_fma_f32 v14, -v11, v12, 1.0
	v_fmac_f32_e32 v12, v14, v12
	v_div_scale_f32 v14, vcc_lo, v9, v13, v9
	v_mul_f32_e32 v15, v14, v12
	v_fma_f32 v16, -v11, v15, v14
	v_fmac_f32_e32 v15, v16, v12
	v_fma_f32 v11, -v11, v15, v14
	v_div_fmas_f32 v11, v11, v12, v15
	v_div_fixup_f32 v9, v11, v13, v9
.LBB8_195:
	s_or_b32 exec_lo, exec_lo, s73
	ds_read_b32 v11, v3 offset:8192
	s_waitcnt vmcnt(0) lgkmcnt(0)
	v_mul_f32_e32 v12, v9, v11
	ds_bpermute_b32 v12, v4, v12
	s_waitcnt lgkmcnt(0)
	v_fmac_f32_e32 v12, v9, v11
	ds_bpermute_b32 v11, v5, v12
	s_waitcnt lgkmcnt(0)
	v_add_f32_e32 v11, v12, v11
	ds_bpermute_b32 v12, v6, v11
	s_waitcnt lgkmcnt(0)
	v_add_f32_e32 v11, v11, v12
	ds_bpermute_b32 v12, v7, v11
	s_waitcnt lgkmcnt(0)
	v_add_f32_e32 v11, v11, v12
	ds_bpermute_b32 v12, v8, v11
	s_and_saveexec_b32 s73, s2
	s_cbranch_execz .LBB8_197
; %bb.196:
	v_mov_b32_e32 v13, 0
	s_waitcnt lgkmcnt(0)
	v_add_f32_e32 v11, v11, v12
	ds_read_b32 v13, v13 offset:8320
	v_sub_f32_e32 v10, v10, v11
	s_waitcnt lgkmcnt(0)
	v_div_scale_f32 v11, null, v13, v13, v10
	v_rcp_f32_e32 v12, v11
	v_fma_f32 v14, -v11, v12, 1.0
	v_fmac_f32_e32 v12, v14, v12
	v_div_scale_f32 v14, vcc_lo, v10, v13, v10
	v_mul_f32_e32 v15, v14, v12
	v_fma_f32 v16, -v11, v15, v14
	v_fmac_f32_e32 v15, v16, v12
	v_fma_f32 v11, -v11, v15, v14
	v_div_fmas_f32 v11, v11, v12, v15
	v_div_fixup_f32 v10, v11, v13, v10
.LBB8_197:
	s_or_b32 exec_lo, exec_lo, s73
	ds_read_b32 v11, v3 offset:8448
	s_waitcnt lgkmcnt(0)
	v_mul_f32_e32 v11, v9, v11
	s_and_saveexec_b32 s73, s2
	s_cbranch_execz .LBB8_199
; %bb.198:
	ds_read_b32 v12, v3 offset:8576
	s_waitcnt lgkmcnt(0)
	v_fmac_f32_e32 v11, v10, v12
.LBB8_199:
	s_or_b32 exec_lo, exec_lo, s73
	ds_bpermute_b32 v12, v4, v11
	s_waitcnt lgkmcnt(0)
	v_add_f32_e32 v11, v11, v12
	ds_bpermute_b32 v12, v5, v11
	s_waitcnt lgkmcnt(0)
	v_add_f32_e32 v11, v11, v12
	ds_bpermute_b32 v12, v6, v11
	s_waitcnt lgkmcnt(0)
	v_add_f32_e32 v11, v11, v12
	ds_bpermute_b32 v12, v7, v11
	s_waitcnt lgkmcnt(0)
	v_add_f32_e32 v11, v11, v12
	ds_bpermute_b32 v12, v8, v11
	s_and_saveexec_b32 s2, s37
	s_cbranch_execz .LBB8_201
; %bb.200:
	v_mov_b32_e32 v13, 0
	s_waitcnt lgkmcnt(0)
	v_add_f32_e32 v11, v11, v12
	ds_read_b32 v13, v13 offset:8580
	v_sub_f32_e32 v10, v10, v11
	s_waitcnt lgkmcnt(0)
	v_div_scale_f32 v11, null, v13, v13, v10
	v_rcp_f32_e32 v12, v11
	v_fma_f32 v14, -v11, v12, 1.0
	v_fmac_f32_e32 v12, v14, v12
	v_div_scale_f32 v14, vcc_lo, v10, v13, v10
	v_mul_f32_e32 v15, v14, v12
	v_fma_f32 v16, -v11, v15, v14
	v_fmac_f32_e32 v15, v16, v12
	v_fma_f32 v11, -v11, v15, v14
	v_div_fmas_f32 v11, v11, v12, v15
	v_div_fixup_f32 v10, v11, v13, v10
.LBB8_201:
	s_or_b32 exec_lo, exec_lo, s2
	ds_read_b32 v11, v3 offset:8704
	s_waitcnt lgkmcnt(0)
	v_mul_f32_e32 v11, v9, v11
	s_and_saveexec_b32 s2, s7
	s_cbranch_execz .LBB8_203
; %bb.202:
	ds_read_b32 v12, v3 offset:8832
	s_waitcnt lgkmcnt(0)
	v_fmac_f32_e32 v11, v10, v12
.LBB8_203:
	s_or_b32 exec_lo, exec_lo, s2
	ds_bpermute_b32 v12, v4, v11
	s_waitcnt lgkmcnt(0)
	v_add_f32_e32 v11, v11, v12
	;; [unrolled: 46-line block ×30, first 2 shown]
	ds_bpermute_b32 v12, v5, v11
	s_waitcnt lgkmcnt(0)
	v_add_f32_e32 v11, v11, v12
	ds_bpermute_b32 v12, v6, v11
	s_waitcnt lgkmcnt(0)
	v_add_f32_e32 v11, v11, v12
	;; [unrolled: 3-line block ×3, first 2 shown]
	ds_bpermute_b32 v12, v8, v11
	s_and_saveexec_b32 s2, s66
	s_cbranch_execz .LBB8_317
; %bb.316:
	v_mov_b32_e32 v13, 0
	s_waitcnt lgkmcnt(0)
	v_add_f32_e32 v11, v11, v12
	ds_read_b32 v13, v13 offset:16120
	v_sub_f32_e32 v10, v10, v11
	s_waitcnt lgkmcnt(0)
	v_div_scale_f32 v11, null, v13, v13, v10
	v_rcp_f32_e32 v12, v11
	v_fma_f32 v14, -v11, v12, 1.0
	v_fmac_f32_e32 v12, v14, v12
	v_div_scale_f32 v14, vcc_lo, v10, v13, v10
	v_mul_f32_e32 v15, v14, v12
	v_fma_f32 v16, -v11, v15, v14
	v_fmac_f32_e32 v15, v16, v12
	v_fma_f32 v11, -v11, v15, v14
	v_div_fmas_f32 v11, v11, v12, v15
	v_div_fixup_f32 v10, v11, v13, v10
.LBB8_317:
	s_or_b32 exec_lo, exec_lo, s2
	ds_read_b32 v11, v3 offset:16128
	s_load_dwordx2 s[4:5], s[4:5], 0x10
	s_waitcnt lgkmcnt(0)
	v_mul_f32_e32 v11, v9, v11
	s_and_saveexec_b32 s2, s3
	s_cbranch_execz .LBB8_319
; %bb.318:
	ds_read_b32 v3, v3 offset:16256
	s_waitcnt lgkmcnt(0)
	v_fmac_f32_e32 v11, v10, v3
.LBB8_319:
	s_or_b32 exec_lo, exec_lo, s2
	ds_bpermute_b32 v3, v4, v11
	s_waitcnt lgkmcnt(0)
	v_add_f32_e32 v3, v11, v3
	ds_bpermute_b32 v4, v5, v3
	s_waitcnt lgkmcnt(0)
	v_add_f32_e32 v3, v3, v4
	;; [unrolled: 3-line block ×4, first 2 shown]
	ds_bpermute_b32 v4, v8, v3
	s_and_saveexec_b32 s2, s6
	s_cbranch_execz .LBB8_321
; %bb.320:
	v_mov_b32_e32 v5, 0
	s_waitcnt lgkmcnt(0)
	v_add_f32_e32 v3, v3, v4
	ds_read_b32 v5, v5 offset:16380
	v_sub_f32_e32 v3, v10, v3
	s_waitcnt lgkmcnt(0)
	v_div_scale_f32 v4, null, v5, v5, v3
	v_rcp_f32_e32 v6, v4
	v_fma_f32 v7, -v4, v6, 1.0
	v_fmac_f32_e32 v6, v7, v6
	v_div_scale_f32 v7, vcc_lo, v3, v5, v3
	v_mul_f32_e32 v8, v7, v6
	v_fma_f32 v10, -v4, v8, v7
	v_fmac_f32_e32 v8, v10, v6
	v_fma_f32 v4, -v4, v8, v7
	v_div_fmas_f32 v4, v4, v6, v8
	v_div_fixup_f32 v10, v4, v5, v3
.LBB8_321:
	s_or_b32 exec_lo, exec_lo, s2
	s_mul_i32 s2, s69, s72
	s_mul_hi_u32 s3, s68, s72
	s_mul_i32 s6, s71, s67
	s_add_i32 s3, s3, s2
	s_mul_i32 s2, s68, s72
	s_mul_hi_u32 s7, s70, s67
	s_lshl_b64 s[2:3], s[2:3], 2
	s_add_i32 s7, s7, s6
	s_mul_i32 s6, s70, s67
	s_add_u32 s4, s4, s2
	s_addc_u32 s5, s5, s3
	s_lshl_b64 s[2:3], s[6:7], 2
	s_add_u32 s2, s4, s2
	s_addc_u32 s3, s5, s3
	s_and_saveexec_b32 s4, s0
	s_cbranch_execz .LBB8_323
; %bb.322:
	v_lshl_or_b32 v0, v0, 4, v1
	v_cndmask_b32_e64 v3, v10, v9, s1
	global_store_dword v0, v3, s[2:3]
.LBB8_323:
	s_or_b32 exec_lo, exec_lo, s4
	s_and_b32 exec_lo, exec_lo, s1
	s_cbranch_execz .LBB8_325
; %bb.324:
	v_lshl_or_b32 v0, v2, 4, v1
	global_store_dword v0, v10, s[2:3]
.LBB8_325:
	s_endpgm
	.section	.rodata,"a",@progbits
	.p2align	6, 0x0
	.amdhsa_kernel _ZL18solve_tri_f32_fastILi64ELi4EEvPKfS1_Pf15HIP_vector_typeIjLj3EEmmmmmmii
		.amdhsa_group_segment_fixed_size 16384
		.amdhsa_private_segment_fixed_size 0
		.amdhsa_kernarg_size 352
		.amdhsa_user_sgpr_count 6
		.amdhsa_user_sgpr_private_segment_buffer 1
		.amdhsa_user_sgpr_dispatch_ptr 0
		.amdhsa_user_sgpr_queue_ptr 0
		.amdhsa_user_sgpr_kernarg_segment_ptr 1
		.amdhsa_user_sgpr_dispatch_id 0
		.amdhsa_user_sgpr_flat_scratch_init 0
		.amdhsa_user_sgpr_private_segment_size 0
		.amdhsa_wavefront_size32 1
		.amdhsa_uses_dynamic_stack 0
		.amdhsa_system_sgpr_private_segment_wavefront_offset 0
		.amdhsa_system_sgpr_workgroup_id_x 1
		.amdhsa_system_sgpr_workgroup_id_y 0
		.amdhsa_system_sgpr_workgroup_id_z 0
		.amdhsa_system_sgpr_workgroup_info 0
		.amdhsa_system_vgpr_workitem_id 1
		.amdhsa_next_free_vgpr 17
		.amdhsa_next_free_sgpr 74
		.amdhsa_reserve_vcc 1
		.amdhsa_reserve_flat_scratch 0
		.amdhsa_float_round_mode_32 0
		.amdhsa_float_round_mode_16_64 0
		.amdhsa_float_denorm_mode_32 3
		.amdhsa_float_denorm_mode_16_64 3
		.amdhsa_dx10_clamp 1
		.amdhsa_ieee_mode 1
		.amdhsa_fp16_overflow 0
		.amdhsa_workgroup_processor_mode 1
		.amdhsa_memory_ordered 1
		.amdhsa_forward_progress 1
		.amdhsa_shared_vgpr_count 0
		.amdhsa_exception_fp_ieee_invalid_op 0
		.amdhsa_exception_fp_denorm_src 0
		.amdhsa_exception_fp_ieee_div_zero 0
		.amdhsa_exception_fp_ieee_overflow 0
		.amdhsa_exception_fp_ieee_underflow 0
		.amdhsa_exception_fp_ieee_inexact 0
		.amdhsa_exception_int_div_zero 0
	.end_amdhsa_kernel
	.section	.text._ZL18solve_tri_f32_fastILi64ELi4EEvPKfS1_Pf15HIP_vector_typeIjLj3EEmmmmmmii,"axG",@progbits,_ZL18solve_tri_f32_fastILi64ELi4EEvPKfS1_Pf15HIP_vector_typeIjLj3EEmmmmmmii,comdat
.Lfunc_end8:
	.size	_ZL18solve_tri_f32_fastILi64ELi4EEvPKfS1_Pf15HIP_vector_typeIjLj3EEmmmmmmii, .Lfunc_end8-_ZL18solve_tri_f32_fastILi64ELi4EEvPKfS1_Pf15HIP_vector_typeIjLj3EEmmmmmmii
                                        ; -- End function
	.set _ZL18solve_tri_f32_fastILi64ELi4EEvPKfS1_Pf15HIP_vector_typeIjLj3EEmmmmmmii.num_vgpr, 17
	.set _ZL18solve_tri_f32_fastILi64ELi4EEvPKfS1_Pf15HIP_vector_typeIjLj3EEmmmmmmii.num_agpr, 0
	.set _ZL18solve_tri_f32_fastILi64ELi4EEvPKfS1_Pf15HIP_vector_typeIjLj3EEmmmmmmii.numbered_sgpr, 74
	.set _ZL18solve_tri_f32_fastILi64ELi4EEvPKfS1_Pf15HIP_vector_typeIjLj3EEmmmmmmii.num_named_barrier, 0
	.set _ZL18solve_tri_f32_fastILi64ELi4EEvPKfS1_Pf15HIP_vector_typeIjLj3EEmmmmmmii.private_seg_size, 0
	.set _ZL18solve_tri_f32_fastILi64ELi4EEvPKfS1_Pf15HIP_vector_typeIjLj3EEmmmmmmii.uses_vcc, 1
	.set _ZL18solve_tri_f32_fastILi64ELi4EEvPKfS1_Pf15HIP_vector_typeIjLj3EEmmmmmmii.uses_flat_scratch, 0
	.set _ZL18solve_tri_f32_fastILi64ELi4EEvPKfS1_Pf15HIP_vector_typeIjLj3EEmmmmmmii.has_dyn_sized_stack, 0
	.set _ZL18solve_tri_f32_fastILi64ELi4EEvPKfS1_Pf15HIP_vector_typeIjLj3EEmmmmmmii.has_recursion, 0
	.set _ZL18solve_tri_f32_fastILi64ELi4EEvPKfS1_Pf15HIP_vector_typeIjLj3EEmmmmmmii.has_indirect_call, 0
	.section	.AMDGPU.csdata,"",@progbits
; Kernel info:
; codeLenInByte = 16976
; TotalNumSgprs: 76
; NumVgprs: 17
; ScratchSize: 0
; MemoryBound: 0
; FloatMode: 240
; IeeeMode: 1
; LDSByteSize: 16384 bytes/workgroup (compile time only)
; SGPRBlocks: 0
; VGPRBlocks: 2
; NumSGPRsForWavesPerEU: 76
; NumVGPRsForWavesPerEU: 17
; Occupancy: 16
; WaveLimiterHint : 0
; COMPUTE_PGM_RSRC2:SCRATCH_EN: 0
; COMPUTE_PGM_RSRC2:USER_SGPR: 6
; COMPUTE_PGM_RSRC2:TRAP_HANDLER: 0
; COMPUTE_PGM_RSRC2:TGID_X_EN: 1
; COMPUTE_PGM_RSRC2:TGID_Y_EN: 0
; COMPUTE_PGM_RSRC2:TGID_Z_EN: 0
; COMPUTE_PGM_RSRC2:TIDIG_COMP_CNT: 1
	.section	.text._ZL18solve_tri_f32_fastILi64ELi2EEvPKfS1_Pf15HIP_vector_typeIjLj3EEmmmmmmii,"axG",@progbits,_ZL18solve_tri_f32_fastILi64ELi2EEvPKfS1_Pf15HIP_vector_typeIjLj3EEmmmmmmii,comdat
	.globl	_ZL18solve_tri_f32_fastILi64ELi2EEvPKfS1_Pf15HIP_vector_typeIjLj3EEmmmmmmii ; -- Begin function _ZL18solve_tri_f32_fastILi64ELi2EEvPKfS1_Pf15HIP_vector_typeIjLj3EEmmmmmmii
	.p2align	8
	.type	_ZL18solve_tri_f32_fastILi64ELi2EEvPKfS1_Pf15HIP_vector_typeIjLj3EEmmmmmmii,@function
_ZL18solve_tri_f32_fastILi64ELi2EEvPKfS1_Pf15HIP_vector_typeIjLj3EEmmmmmmii: ; @_ZL18solve_tri_f32_fastILi64ELi2EEvPKfS1_Pf15HIP_vector_typeIjLj3EEmmmmmmii
; %bb.0:
	s_mov_b32 s0, exec_lo
	v_cmpx_gt_u32_e32 2, v1
	s_cbranch_execz .LBB9_389
; %bb.1:
	s_clause 0x3
	s_load_dwordx4 s[0:3], s[4:5], 0x18
	s_load_dwordx8 s[8:15], s[4:5], 0x28
	s_load_dwordx2 s[16:17], s[4:5], 0x0
	s_load_dword s7, s[4:5], 0x6c
	s_waitcnt lgkmcnt(0)
	s_mul_hi_u32 s0, s0, s6
	s_add_i32 s0, s6, s0
	s_lshr_b32 s67, s0, s1
	s_mul_i32 s0, s67, s2
	s_mul_i32 s3, s11, s67
	s_sub_i32 s72, s6, s0
	s_mul_hi_u32 s6, s10, s67
	s_mul_i32 s1, s9, s72
	s_mul_hi_u32 s2, s8, s72
	s_mul_i32 s0, s8, s72
	s_add_i32 s1, s2, s1
	s_mul_i32 s2, s10, s67
	s_lshl_b64 s[0:1], s[0:1], 2
	s_add_u32 s8, s16, s0
	s_addc_u32 s9, s17, s1
	s_add_i32 s3, s6, s3
	s_lshl_b64 s[0:1], s[2:3], 2
	s_add_u32 s0, s8, s0
	s_addc_u32 s1, s9, s1
	s_and_b32 s2, s7, 0xffff
	v_mad_u32_u24 v3, v1, s2, v0
	s_mov_b32 s2, exec_lo
	v_lshlrev_b32_e32 v2, 2, v3
	v_cmpx_gt_u32_e32 0x1000, v3
	s_cbranch_execz .LBB9_3
; %bb.2:
	global_load_dword v4, v2, s[0:1]
	s_waitcnt vmcnt(0)
	ds_write_b32 v2, v4
.LBB9_3:
	s_or_b32 exec_lo, exec_lo, s2
	s_mov_b32 s2, exec_lo
	v_cmpx_gt_u32_e32 0xfc0, v3
	s_cbranch_execz .LBB9_5
; %bb.4:
	global_load_dword v4, v2, s[0:1] offset:256
	s_waitcnt vmcnt(0)
	ds_write_b32 v2, v4 offset:256
.LBB9_5:
	s_or_b32 exec_lo, exec_lo, s2
	s_mov_b32 s2, exec_lo
	v_cmpx_gt_u32_e32 0xf80, v3
	s_cbranch_execz .LBB9_7
; %bb.6:
	global_load_dword v4, v2, s[0:1] offset:512
	s_waitcnt vmcnt(0)
	ds_write_b32 v2, v4 offset:512
.LBB9_7:
	;; [unrolled: 9-line block ×7, first 2 shown]
	s_or_b32 exec_lo, exec_lo, s2
	s_mov_b32 s2, exec_lo
	v_cmpx_gt_u32_e32 0xe00, v3
	s_cbranch_execz .LBB9_19
; %bb.18:
	v_add_nc_u32_e32 v4, 0x800, v2
	global_load_dword v4, v4, s[0:1]
	s_waitcnt vmcnt(0)
	ds_write_b32 v2, v4 offset:2048
.LBB9_19:
	s_or_b32 exec_lo, exec_lo, s2
	s_mov_b32 s2, exec_lo
	v_cmpx_gt_u32_e32 0xdc0, v3
	s_cbranch_execz .LBB9_21
; %bb.20:
	v_add_nc_u32_e32 v4, 0x900, v2
	global_load_dword v4, v4, s[0:1]
	s_waitcnt vmcnt(0)
	ds_write_b32 v2, v4 offset:2304
.LBB9_21:
	;; [unrolled: 10-line block ×24, first 2 shown]
	s_or_b32 exec_lo, exec_lo, s2
	s_mov_b32 s2, exec_lo
	v_cmpx_gt_u32_e32 0x800, v3
	s_cbranch_execz .LBB9_67
; %bb.66:
	v_or_b32_e32 v4, 0x2000, v2
	global_load_dword v4, v4, s[0:1]
	s_waitcnt vmcnt(0)
	ds_write_b32 v2, v4 offset:8192
.LBB9_67:
	s_or_b32 exec_lo, exec_lo, s2
	s_mov_b32 s2, exec_lo
	v_cmpx_gt_u32_e32 0x7c0, v3
	s_cbranch_execz .LBB9_69
; %bb.68:
	v_add_nc_u32_e32 v4, 0x2100, v2
	global_load_dword v4, v4, s[0:1]
	s_waitcnt vmcnt(0)
	ds_write_b32 v2, v4 offset:8448
.LBB9_69:
	s_or_b32 exec_lo, exec_lo, s2
	s_mov_b32 s2, exec_lo
	v_cmpx_gt_u32_e32 0x780, v3
	s_cbranch_execz .LBB9_71
; %bb.70:
	v_add_nc_u32_e32 v4, 0x2200, v2
	global_load_dword v4, v4, s[0:1]
	s_waitcnt vmcnt(0)
	ds_write_b32 v2, v4 offset:8704
.LBB9_71:
	;; [unrolled: 10-line block ×15, first 2 shown]
	s_or_b32 exec_lo, exec_lo, s2
	s_mov_b32 s2, exec_lo
	v_cmpx_gt_u32_e32 0x400, v3
	s_cbranch_execz .LBB9_99
; %bb.98:
	v_or_b32_e32 v4, 0x3000, v2
	global_load_dword v4, v4, s[0:1]
	s_waitcnt vmcnt(0)
	ds_write_b32 v2, v4 offset:12288
.LBB9_99:
	s_or_b32 exec_lo, exec_lo, s2
	s_mov_b32 s2, exec_lo
	v_cmpx_gt_u32_e32 0x3c0, v3
	s_cbranch_execz .LBB9_101
; %bb.100:
	v_add_nc_u32_e32 v4, 0x3100, v2
	global_load_dword v4, v4, s[0:1]
	s_waitcnt vmcnt(0)
	ds_write_b32 v2, v4 offset:12544
.LBB9_101:
	s_or_b32 exec_lo, exec_lo, s2
	s_mov_b32 s2, exec_lo
	v_cmpx_gt_u32_e32 0x380, v3
	s_cbranch_execz .LBB9_103
; %bb.102:
	v_add_nc_u32_e32 v4, 0x3200, v2
	global_load_dword v4, v4, s[0:1]
	s_waitcnt vmcnt(0)
	ds_write_b32 v2, v4 offset:12800
.LBB9_103:
	;; [unrolled: 10-line block ×7, first 2 shown]
	s_or_b32 exec_lo, exec_lo, s2
	s_mov_b32 s2, exec_lo
	v_cmpx_gt_u32_e32 0x200, v3
	s_cbranch_execz .LBB9_115
; %bb.114:
	v_or_b32_e32 v4, 0x3800, v2
	global_load_dword v4, v4, s[0:1]
	s_waitcnt vmcnt(0)
	ds_write_b32 v2, v4 offset:14336
.LBB9_115:
	s_or_b32 exec_lo, exec_lo, s2
	s_mov_b32 s2, exec_lo
	v_cmpx_gt_u32_e32 0x1c0, v3
	s_cbranch_execz .LBB9_117
; %bb.116:
	v_add_nc_u32_e32 v4, 0x3900, v2
	global_load_dword v4, v4, s[0:1]
	s_waitcnt vmcnt(0)
	ds_write_b32 v2, v4 offset:14592
.LBB9_117:
	s_or_b32 exec_lo, exec_lo, s2
	s_mov_b32 s2, exec_lo
	v_cmpx_gt_u32_e32 0x180, v3
	s_cbranch_execz .LBB9_119
; %bb.118:
	v_add_nc_u32_e32 v4, 0x3a00, v2
	global_load_dword v4, v4, s[0:1]
	s_waitcnt vmcnt(0)
	ds_write_b32 v2, v4 offset:14848
.LBB9_119:
	;; [unrolled: 10-line block ×3, first 2 shown]
	s_or_b32 exec_lo, exec_lo, s2
	s_mov_b32 s2, exec_lo
	v_cmpx_gt_u32_e32 0x100, v3
	s_cbranch_execz .LBB9_123
; %bb.122:
	v_or_b32_e32 v4, 0x3c00, v2
	global_load_dword v4, v4, s[0:1]
	s_waitcnt vmcnt(0)
	ds_write_b32 v2, v4 offset:15360
.LBB9_123:
	s_or_b32 exec_lo, exec_lo, s2
	s_load_dwordx4 s[68:71], s[4:5], 0x48
	s_mov_b32 s2, exec_lo
	v_cmpx_gt_u32_e32 0xc0, v3
	s_cbranch_execz .LBB9_125
; %bb.124:
	v_add_nc_u32_e32 v4, 0x3d00, v2
	global_load_dword v4, v4, s[0:1]
	s_waitcnt vmcnt(0)
	ds_write_b32 v2, v4 offset:15616
.LBB9_125:
	s_or_b32 exec_lo, exec_lo, s2
	s_load_dwordx2 s[2:3], s[4:5], 0x8
	s_mov_b32 s6, exec_lo
	v_cmpx_gt_u32_e32 0x80, v3
	s_cbranch_execz .LBB9_127
; %bb.126:
	v_or_b32_e32 v4, 0x3e00, v2
	global_load_dword v4, v4, s[0:1]
	s_waitcnt vmcnt(0)
	ds_write_b32 v2, v4 offset:15872
.LBB9_127:
	s_or_b32 exec_lo, exec_lo, s6
	s_mov_b32 s6, exec_lo
	v_cmpx_gt_u32_e32 64, v3
	s_cbranch_execz .LBB9_129
; %bb.128:
	v_or_b32_e32 v3, 0x3f00, v2
	global_load_dword v3, v3, s[0:1]
	s_waitcnt vmcnt(0)
	ds_write_b32 v2, v3 offset:16128
.LBB9_129:
	s_or_b32 exec_lo, exec_lo, s6
	s_mul_i32 s0, s13, s72
	s_mul_hi_u32 s1, s12, s72
	s_mul_i32 s6, s15, s67
	s_add_i32 s1, s1, s0
	s_mul_i32 s0, s12, s72
	s_mul_hi_u32 s7, s14, s67
	s_lshl_b64 s[0:1], s[0:1], 2
	s_add_i32 s7, s7, s6
	s_mul_i32 s6, s14, s67
	s_waitcnt lgkmcnt(0)
	s_add_u32 s2, s2, s0
	s_addc_u32 s3, s3, s1
	s_lshl_b64 s[0:1], s[6:7], 2
	v_mov_b32_e32 v10, 0
	s_add_u32 s2, s2, s0
	v_cmp_gt_u32_e64 s0, 64, v0
	v_lshlrev_b32_e32 v1, 2, v1
	v_mov_b32_e32 v9, 0
	s_addc_u32 s3, s3, s1
	s_barrier
	buffer_gl0_inv
	s_and_saveexec_b32 s1, s0
	s_cbranch_execz .LBB9_131
; %bb.130:
	v_lshl_or_b32 v2, v0, 3, v1
	global_load_dword v9, v2, s[2:3]
.LBB9_131:
	s_or_b32 exec_lo, exec_lo, s1
	v_add_nc_u32_e32 v2, 32, v0
	v_cmp_gt_u32_e64 s1, 32, v0
	s_and_saveexec_b32 s6, s1
	s_cbranch_execz .LBB9_133
; %bb.132:
	v_lshl_or_b32 v3, v2, 3, v1
	global_load_dword v10, v3, s[2:3]
.LBB9_133:
	s_or_b32 exec_lo, exec_lo, s6
	v_cmp_eq_u32_e64 s2, 0, v0
	s_and_saveexec_b32 s3, s2
	s_cbranch_execz .LBB9_135
; %bb.134:
	v_mov_b32_e32 v3, 0
	ds_read_b32 v3, v3
	s_waitcnt vmcnt(0) lgkmcnt(0)
	v_div_scale_f32 v4, null, v3, v3, v9
	v_rcp_f32_e32 v5, v4
	v_fma_f32 v6, -v4, v5, 1.0
	v_fmac_f32_e32 v5, v6, v5
	v_div_scale_f32 v6, vcc_lo, v9, v3, v9
	v_mul_f32_e32 v7, v6, v5
	v_fma_f32 v8, -v4, v7, v6
	v_fmac_f32_e32 v7, v8, v5
	v_fma_f32 v4, -v4, v7, v6
	v_div_fmas_f32 v4, v4, v5, v7
	v_div_fixup_f32 v9, v4, v3, v9
.LBB9_135:
	s_or_b32 exec_lo, exec_lo, s3
	v_lshlrev_b32_e32 v3, 2, v0
	v_mov_b32_e32 v6, 0
	s_and_saveexec_b32 s3, s2
	s_cbranch_execz .LBB9_137
; %bb.136:
	ds_read_b32 v4, v3 offset:256
	s_waitcnt vmcnt(0) lgkmcnt(0)
	v_fma_f32 v6, v9, v4, 0
.LBB9_137:
	s_or_b32 exec_lo, exec_lo, s3
	v_mbcnt_lo_u32_b32 v8, -1, 0
	v_cmp_eq_u32_e64 s37, 1, v0
	v_xor_b32_e32 v4, 16, v8
	v_xor_b32_e32 v5, 8, v8
	;; [unrolled: 1-line block ×3, first 2 shown]
	v_cmp_gt_i32_e32 vcc_lo, 32, v4
	v_cndmask_b32_e32 v4, v8, v4, vcc_lo
	v_cmp_gt_i32_e32 vcc_lo, 32, v5
	v_lshlrev_b32_e32 v4, 2, v4
	v_cndmask_b32_e32 v5, v8, v5, vcc_lo
	ds_bpermute_b32 v7, v4, v6
	v_lshlrev_b32_e32 v5, 2, v5
	s_waitcnt lgkmcnt(0)
	v_add_f32_e32 v7, v6, v7
	v_xor_b32_e32 v6, 4, v8
	ds_bpermute_b32 v11, v5, v7
	v_cmp_gt_i32_e32 vcc_lo, 32, v6
	v_cndmask_b32_e32 v6, v8, v6, vcc_lo
	v_lshlrev_b32_e32 v6, 2, v6
	s_waitcnt lgkmcnt(0)
	v_add_f32_e32 v11, v7, v11
	v_xor_b32_e32 v7, 2, v8
	ds_bpermute_b32 v12, v6, v11
	v_cmp_gt_i32_e32 vcc_lo, 32, v7
	v_cndmask_b32_e32 v7, v8, v7, vcc_lo
	v_cmp_gt_i32_e32 vcc_lo, 32, v13
	v_lshlrev_b32_e32 v7, 2, v7
	v_cndmask_b32_e32 v8, v8, v13, vcc_lo
	v_lshlrev_b32_e32 v8, 2, v8
	s_waitcnt lgkmcnt(0)
	v_add_f32_e32 v11, v11, v12
	ds_bpermute_b32 v12, v7, v11
	s_waitcnt lgkmcnt(0)
	v_add_f32_e32 v11, v11, v12
	ds_bpermute_b32 v12, v8, v11
	s_and_saveexec_b32 s3, s37
	s_cbranch_execz .LBB9_139
; %bb.138:
	v_mov_b32_e32 v13, 0
	s_waitcnt lgkmcnt(0)
	v_add_f32_e32 v11, v11, v12
	ds_read_b32 v13, v13 offset:260
	s_waitcnt vmcnt(0)
	v_sub_f32_e32 v9, v9, v11
	s_waitcnt lgkmcnt(0)
	v_div_scale_f32 v11, null, v13, v13, v9
	v_rcp_f32_e32 v12, v11
	v_fma_f32 v14, -v11, v12, 1.0
	v_fmac_f32_e32 v12, v14, v12
	v_div_scale_f32 v14, vcc_lo, v9, v13, v9
	v_mul_f32_e32 v15, v14, v12
	v_fma_f32 v16, -v11, v15, v14
	v_fmac_f32_e32 v15, v16, v12
	v_fma_f32 v11, -v11, v15, v14
	v_div_fmas_f32 v11, v11, v12, v15
	v_div_fixup_f32 v9, v11, v13, v9
.LBB9_139:
	s_or_b32 exec_lo, exec_lo, s3
	v_cmp_gt_u32_e64 s7, 2, v0
	v_mov_b32_e32 v11, 0
	s_and_saveexec_b32 s3, s7
	s_cbranch_execz .LBB9_141
; %bb.140:
	ds_read_b32 v11, v3 offset:512
	s_waitcnt vmcnt(0) lgkmcnt(0)
	v_fma_f32 v11, v9, v11, 0
.LBB9_141:
	s_or_b32 exec_lo, exec_lo, s3
	s_waitcnt lgkmcnt(0)
	ds_bpermute_b32 v12, v4, v11
	v_cmp_eq_u32_e64 s38, 2, v0
	s_waitcnt lgkmcnt(0)
	v_add_f32_e32 v11, v11, v12
	ds_bpermute_b32 v12, v5, v11
	s_waitcnt lgkmcnt(0)
	v_add_f32_e32 v11, v11, v12
	ds_bpermute_b32 v12, v6, v11
	s_waitcnt lgkmcnt(0)
	v_add_f32_e32 v11, v11, v12
	ds_bpermute_b32 v12, v7, v11
	s_waitcnt lgkmcnt(0)
	v_add_f32_e32 v11, v11, v12
	ds_bpermute_b32 v12, v8, v11
	s_and_saveexec_b32 s3, s38
	s_cbranch_execz .LBB9_143
; %bb.142:
	v_mov_b32_e32 v13, 0
	s_waitcnt lgkmcnt(0)
	v_add_f32_e32 v11, v11, v12
	ds_read_b32 v13, v13 offset:520
	s_waitcnt vmcnt(0)
	v_sub_f32_e32 v9, v9, v11
	s_waitcnt lgkmcnt(0)
	v_div_scale_f32 v11, null, v13, v13, v9
	v_rcp_f32_e32 v12, v11
	v_fma_f32 v14, -v11, v12, 1.0
	v_fmac_f32_e32 v12, v14, v12
	v_div_scale_f32 v14, vcc_lo, v9, v13, v9
	v_mul_f32_e32 v15, v14, v12
	v_fma_f32 v16, -v11, v15, v14
	v_fmac_f32_e32 v15, v16, v12
	v_fma_f32 v11, -v11, v15, v14
	v_div_fmas_f32 v11, v11, v12, v15
	v_div_fixup_f32 v9, v11, v13, v9
.LBB9_143:
	s_or_b32 exec_lo, exec_lo, s3
	v_cmp_gt_u32_e64 s8, 3, v0
	v_mov_b32_e32 v11, 0
	s_and_saveexec_b32 s3, s8
	s_cbranch_execz .LBB9_145
; %bb.144:
	ds_read_b32 v11, v3 offset:768
	s_waitcnt vmcnt(0) lgkmcnt(0)
	v_fma_f32 v11, v9, v11, 0
.LBB9_145:
	s_or_b32 exec_lo, exec_lo, s3
	s_waitcnt lgkmcnt(0)
	ds_bpermute_b32 v12, v4, v11
	v_cmp_eq_u32_e64 s39, 3, v0
	s_waitcnt lgkmcnt(0)
	v_add_f32_e32 v11, v11, v12
	ds_bpermute_b32 v12, v5, v11
	s_waitcnt lgkmcnt(0)
	v_add_f32_e32 v11, v11, v12
	ds_bpermute_b32 v12, v6, v11
	;; [unrolled: 48-line block ×30, first 2 shown]
	s_waitcnt lgkmcnt(0)
	v_add_f32_e32 v11, v11, v12
	ds_bpermute_b32 v12, v7, v11
	s_waitcnt lgkmcnt(0)
	v_add_f32_e32 v11, v11, v12
	ds_bpermute_b32 v12, v8, v11
	s_and_saveexec_b32 s73, s6
	s_cbranch_execz .LBB9_259
; %bb.258:
	v_mov_b32_e32 v13, 0
	s_waitcnt lgkmcnt(0)
	v_add_f32_e32 v11, v11, v12
	ds_read_b32 v13, v13 offset:8060
	s_waitcnt vmcnt(0)
	v_sub_f32_e32 v9, v9, v11
	s_waitcnt lgkmcnt(0)
	v_div_scale_f32 v11, null, v13, v13, v9
	v_rcp_f32_e32 v12, v11
	v_fma_f32 v14, -v11, v12, 1.0
	v_fmac_f32_e32 v12, v14, v12
	v_div_scale_f32 v14, vcc_lo, v9, v13, v9
	v_mul_f32_e32 v15, v14, v12
	v_fma_f32 v16, -v11, v15, v14
	v_fmac_f32_e32 v15, v16, v12
	v_fma_f32 v11, -v11, v15, v14
	v_div_fmas_f32 v11, v11, v12, v15
	v_div_fixup_f32 v9, v11, v13, v9
.LBB9_259:
	s_or_b32 exec_lo, exec_lo, s73
	ds_read_b32 v11, v3 offset:8192
	s_waitcnt vmcnt(0) lgkmcnt(0)
	v_mul_f32_e32 v12, v9, v11
	ds_bpermute_b32 v12, v4, v12
	s_waitcnt lgkmcnt(0)
	v_fmac_f32_e32 v12, v9, v11
	ds_bpermute_b32 v11, v5, v12
	s_waitcnt lgkmcnt(0)
	v_add_f32_e32 v11, v12, v11
	ds_bpermute_b32 v12, v6, v11
	s_waitcnt lgkmcnt(0)
	v_add_f32_e32 v11, v11, v12
	ds_bpermute_b32 v12, v7, v11
	s_waitcnt lgkmcnt(0)
	v_add_f32_e32 v11, v11, v12
	ds_bpermute_b32 v12, v8, v11
	s_and_saveexec_b32 s73, s2
	s_cbranch_execz .LBB9_261
; %bb.260:
	v_mov_b32_e32 v13, 0
	s_waitcnt lgkmcnt(0)
	v_add_f32_e32 v11, v11, v12
	ds_read_b32 v13, v13 offset:8320
	v_sub_f32_e32 v10, v10, v11
	s_waitcnt lgkmcnt(0)
	v_div_scale_f32 v11, null, v13, v13, v10
	v_rcp_f32_e32 v12, v11
	v_fma_f32 v14, -v11, v12, 1.0
	v_fmac_f32_e32 v12, v14, v12
	v_div_scale_f32 v14, vcc_lo, v10, v13, v10
	v_mul_f32_e32 v15, v14, v12
	v_fma_f32 v16, -v11, v15, v14
	v_fmac_f32_e32 v15, v16, v12
	v_fma_f32 v11, -v11, v15, v14
	v_div_fmas_f32 v11, v11, v12, v15
	v_div_fixup_f32 v10, v11, v13, v10
.LBB9_261:
	s_or_b32 exec_lo, exec_lo, s73
	ds_read_b32 v11, v3 offset:8448
	s_waitcnt lgkmcnt(0)
	v_mul_f32_e32 v11, v9, v11
	s_and_saveexec_b32 s73, s2
	s_cbranch_execz .LBB9_263
; %bb.262:
	ds_read_b32 v12, v3 offset:8576
	s_waitcnt lgkmcnt(0)
	v_fmac_f32_e32 v11, v10, v12
.LBB9_263:
	s_or_b32 exec_lo, exec_lo, s73
	ds_bpermute_b32 v12, v4, v11
	s_waitcnt lgkmcnt(0)
	v_add_f32_e32 v11, v11, v12
	ds_bpermute_b32 v12, v5, v11
	s_waitcnt lgkmcnt(0)
	v_add_f32_e32 v11, v11, v12
	ds_bpermute_b32 v12, v6, v11
	s_waitcnt lgkmcnt(0)
	v_add_f32_e32 v11, v11, v12
	ds_bpermute_b32 v12, v7, v11
	s_waitcnt lgkmcnt(0)
	v_add_f32_e32 v11, v11, v12
	ds_bpermute_b32 v12, v8, v11
	s_and_saveexec_b32 s2, s37
	s_cbranch_execz .LBB9_265
; %bb.264:
	v_mov_b32_e32 v13, 0
	s_waitcnt lgkmcnt(0)
	v_add_f32_e32 v11, v11, v12
	ds_read_b32 v13, v13 offset:8580
	v_sub_f32_e32 v10, v10, v11
	s_waitcnt lgkmcnt(0)
	v_div_scale_f32 v11, null, v13, v13, v10
	v_rcp_f32_e32 v12, v11
	v_fma_f32 v14, -v11, v12, 1.0
	v_fmac_f32_e32 v12, v14, v12
	v_div_scale_f32 v14, vcc_lo, v10, v13, v10
	v_mul_f32_e32 v15, v14, v12
	v_fma_f32 v16, -v11, v15, v14
	v_fmac_f32_e32 v15, v16, v12
	v_fma_f32 v11, -v11, v15, v14
	v_div_fmas_f32 v11, v11, v12, v15
	v_div_fixup_f32 v10, v11, v13, v10
.LBB9_265:
	s_or_b32 exec_lo, exec_lo, s2
	ds_read_b32 v11, v3 offset:8704
	s_waitcnt lgkmcnt(0)
	v_mul_f32_e32 v11, v9, v11
	s_and_saveexec_b32 s2, s7
	s_cbranch_execz .LBB9_267
; %bb.266:
	ds_read_b32 v12, v3 offset:8832
	s_waitcnt lgkmcnt(0)
	v_fmac_f32_e32 v11, v10, v12
.LBB9_267:
	s_or_b32 exec_lo, exec_lo, s2
	ds_bpermute_b32 v12, v4, v11
	s_waitcnt lgkmcnt(0)
	v_add_f32_e32 v11, v11, v12
	ds_bpermute_b32 v12, v5, v11
	s_waitcnt lgkmcnt(0)
	v_add_f32_e32 v11, v11, v12
	ds_bpermute_b32 v12, v6, v11
	s_waitcnt lgkmcnt(0)
	v_add_f32_e32 v11, v11, v12
	ds_bpermute_b32 v12, v7, v11
	s_waitcnt lgkmcnt(0)
	v_add_f32_e32 v11, v11, v12
	ds_bpermute_b32 v12, v8, v11
	s_and_saveexec_b32 s2, s38
	s_cbranch_execz .LBB9_269
; %bb.268:
	v_mov_b32_e32 v13, 0
	s_waitcnt lgkmcnt(0)
	v_add_f32_e32 v11, v11, v12
	ds_read_b32 v13, v13 offset:8840
	v_sub_f32_e32 v10, v10, v11
	s_waitcnt lgkmcnt(0)
	v_div_scale_f32 v11, null, v13, v13, v10
	v_rcp_f32_e32 v12, v11
	v_fma_f32 v14, -v11, v12, 1.0
	v_fmac_f32_e32 v12, v14, v12
	v_div_scale_f32 v14, vcc_lo, v10, v13, v10
	v_mul_f32_e32 v15, v14, v12
	v_fma_f32 v16, -v11, v15, v14
	v_fmac_f32_e32 v15, v16, v12
	v_fma_f32 v11, -v11, v15, v14
	v_div_fmas_f32 v11, v11, v12, v15
	v_div_fixup_f32 v10, v11, v13, v10
.LBB9_269:
	s_or_b32 exec_lo, exec_lo, s2
	ds_read_b32 v11, v3 offset:8960
	s_waitcnt lgkmcnt(0)
	v_mul_f32_e32 v11, v9, v11
	s_and_saveexec_b32 s2, s8
	s_cbranch_execz .LBB9_271
; %bb.270:
	ds_read_b32 v12, v3 offset:9088
	s_waitcnt lgkmcnt(0)
	v_fmac_f32_e32 v11, v10, v12
.LBB9_271:
	s_or_b32 exec_lo, exec_lo, s2
	ds_bpermute_b32 v12, v4, v11
	s_waitcnt lgkmcnt(0)
	v_add_f32_e32 v11, v11, v12
	ds_bpermute_b32 v12, v5, v11
	s_waitcnt lgkmcnt(0)
	v_add_f32_e32 v11, v11, v12
	ds_bpermute_b32 v12, v6, v11
	s_waitcnt lgkmcnt(0)
	v_add_f32_e32 v11, v11, v12
	ds_bpermute_b32 v12, v7, v11
	s_waitcnt lgkmcnt(0)
	v_add_f32_e32 v11, v11, v12
	ds_bpermute_b32 v12, v8, v11
	s_and_saveexec_b32 s2, s39
	s_cbranch_execz .LBB9_273
; %bb.272:
	v_mov_b32_e32 v13, 0
	s_waitcnt lgkmcnt(0)
	v_add_f32_e32 v11, v11, v12
	ds_read_b32 v13, v13 offset:9100
	v_sub_f32_e32 v10, v10, v11
	s_waitcnt lgkmcnt(0)
	v_div_scale_f32 v11, null, v13, v13, v10
	v_rcp_f32_e32 v12, v11
	v_fma_f32 v14, -v11, v12, 1.0
	v_fmac_f32_e32 v12, v14, v12
	v_div_scale_f32 v14, vcc_lo, v10, v13, v10
	v_mul_f32_e32 v15, v14, v12
	v_fma_f32 v16, -v11, v15, v14
	v_fmac_f32_e32 v15, v16, v12
	v_fma_f32 v11, -v11, v15, v14
	v_div_fmas_f32 v11, v11, v12, v15
	v_div_fixup_f32 v10, v11, v13, v10
.LBB9_273:
	s_or_b32 exec_lo, exec_lo, s2
	ds_read_b32 v11, v3 offset:9216
	s_waitcnt lgkmcnt(0)
	v_mul_f32_e32 v11, v9, v11
	s_and_saveexec_b32 s2, s9
	s_cbranch_execz .LBB9_275
; %bb.274:
	ds_read_b32 v12, v3 offset:9344
	s_waitcnt lgkmcnt(0)
	v_fmac_f32_e32 v11, v10, v12
.LBB9_275:
	s_or_b32 exec_lo, exec_lo, s2
	ds_bpermute_b32 v12, v4, v11
	s_waitcnt lgkmcnt(0)
	v_add_f32_e32 v11, v11, v12
	ds_bpermute_b32 v12, v5, v11
	s_waitcnt lgkmcnt(0)
	v_add_f32_e32 v11, v11, v12
	ds_bpermute_b32 v12, v6, v11
	s_waitcnt lgkmcnt(0)
	v_add_f32_e32 v11, v11, v12
	ds_bpermute_b32 v12, v7, v11
	s_waitcnt lgkmcnt(0)
	v_add_f32_e32 v11, v11, v12
	ds_bpermute_b32 v12, v8, v11
	s_and_saveexec_b32 s2, s40
	s_cbranch_execz .LBB9_277
; %bb.276:
	v_mov_b32_e32 v13, 0
	s_waitcnt lgkmcnt(0)
	v_add_f32_e32 v11, v11, v12
	ds_read_b32 v13, v13 offset:9360
	v_sub_f32_e32 v10, v10, v11
	s_waitcnt lgkmcnt(0)
	v_div_scale_f32 v11, null, v13, v13, v10
	v_rcp_f32_e32 v12, v11
	v_fma_f32 v14, -v11, v12, 1.0
	v_fmac_f32_e32 v12, v14, v12
	v_div_scale_f32 v14, vcc_lo, v10, v13, v10
	v_mul_f32_e32 v15, v14, v12
	v_fma_f32 v16, -v11, v15, v14
	v_fmac_f32_e32 v15, v16, v12
	v_fma_f32 v11, -v11, v15, v14
	v_div_fmas_f32 v11, v11, v12, v15
	v_div_fixup_f32 v10, v11, v13, v10
.LBB9_277:
	s_or_b32 exec_lo, exec_lo, s2
	ds_read_b32 v11, v3 offset:9472
	s_waitcnt lgkmcnt(0)
	v_mul_f32_e32 v11, v9, v11
	s_and_saveexec_b32 s2, s10
	s_cbranch_execz .LBB9_279
; %bb.278:
	ds_read_b32 v12, v3 offset:9600
	s_waitcnt lgkmcnt(0)
	v_fmac_f32_e32 v11, v10, v12
.LBB9_279:
	s_or_b32 exec_lo, exec_lo, s2
	ds_bpermute_b32 v12, v4, v11
	s_waitcnt lgkmcnt(0)
	v_add_f32_e32 v11, v11, v12
	ds_bpermute_b32 v12, v5, v11
	s_waitcnt lgkmcnt(0)
	v_add_f32_e32 v11, v11, v12
	ds_bpermute_b32 v12, v6, v11
	s_waitcnt lgkmcnt(0)
	v_add_f32_e32 v11, v11, v12
	ds_bpermute_b32 v12, v7, v11
	s_waitcnt lgkmcnt(0)
	v_add_f32_e32 v11, v11, v12
	ds_bpermute_b32 v12, v8, v11
	s_and_saveexec_b32 s2, s41
	s_cbranch_execz .LBB9_281
; %bb.280:
	v_mov_b32_e32 v13, 0
	s_waitcnt lgkmcnt(0)
	v_add_f32_e32 v11, v11, v12
	ds_read_b32 v13, v13 offset:9620
	v_sub_f32_e32 v10, v10, v11
	s_waitcnt lgkmcnt(0)
	v_div_scale_f32 v11, null, v13, v13, v10
	v_rcp_f32_e32 v12, v11
	v_fma_f32 v14, -v11, v12, 1.0
	v_fmac_f32_e32 v12, v14, v12
	v_div_scale_f32 v14, vcc_lo, v10, v13, v10
	v_mul_f32_e32 v15, v14, v12
	v_fma_f32 v16, -v11, v15, v14
	v_fmac_f32_e32 v15, v16, v12
	v_fma_f32 v11, -v11, v15, v14
	v_div_fmas_f32 v11, v11, v12, v15
	v_div_fixup_f32 v10, v11, v13, v10
.LBB9_281:
	s_or_b32 exec_lo, exec_lo, s2
	ds_read_b32 v11, v3 offset:9728
	s_waitcnt lgkmcnt(0)
	v_mul_f32_e32 v11, v9, v11
	s_and_saveexec_b32 s2, s11
	s_cbranch_execz .LBB9_283
; %bb.282:
	ds_read_b32 v12, v3 offset:9856
	s_waitcnt lgkmcnt(0)
	v_fmac_f32_e32 v11, v10, v12
.LBB9_283:
	s_or_b32 exec_lo, exec_lo, s2
	ds_bpermute_b32 v12, v4, v11
	s_waitcnt lgkmcnt(0)
	v_add_f32_e32 v11, v11, v12
	ds_bpermute_b32 v12, v5, v11
	s_waitcnt lgkmcnt(0)
	v_add_f32_e32 v11, v11, v12
	ds_bpermute_b32 v12, v6, v11
	s_waitcnt lgkmcnt(0)
	v_add_f32_e32 v11, v11, v12
	ds_bpermute_b32 v12, v7, v11
	s_waitcnt lgkmcnt(0)
	v_add_f32_e32 v11, v11, v12
	ds_bpermute_b32 v12, v8, v11
	s_and_saveexec_b32 s2, s42
	s_cbranch_execz .LBB9_285
; %bb.284:
	v_mov_b32_e32 v13, 0
	s_waitcnt lgkmcnt(0)
	v_add_f32_e32 v11, v11, v12
	ds_read_b32 v13, v13 offset:9880
	v_sub_f32_e32 v10, v10, v11
	s_waitcnt lgkmcnt(0)
	v_div_scale_f32 v11, null, v13, v13, v10
	v_rcp_f32_e32 v12, v11
	v_fma_f32 v14, -v11, v12, 1.0
	v_fmac_f32_e32 v12, v14, v12
	v_div_scale_f32 v14, vcc_lo, v10, v13, v10
	v_mul_f32_e32 v15, v14, v12
	v_fma_f32 v16, -v11, v15, v14
	v_fmac_f32_e32 v15, v16, v12
	v_fma_f32 v11, -v11, v15, v14
	v_div_fmas_f32 v11, v11, v12, v15
	v_div_fixup_f32 v10, v11, v13, v10
.LBB9_285:
	s_or_b32 exec_lo, exec_lo, s2
	ds_read_b32 v11, v3 offset:9984
	s_waitcnt lgkmcnt(0)
	v_mul_f32_e32 v11, v9, v11
	s_and_saveexec_b32 s2, s12
	s_cbranch_execz .LBB9_287
; %bb.286:
	ds_read_b32 v12, v3 offset:10112
	s_waitcnt lgkmcnt(0)
	v_fmac_f32_e32 v11, v10, v12
.LBB9_287:
	s_or_b32 exec_lo, exec_lo, s2
	ds_bpermute_b32 v12, v4, v11
	s_waitcnt lgkmcnt(0)
	v_add_f32_e32 v11, v11, v12
	ds_bpermute_b32 v12, v5, v11
	s_waitcnt lgkmcnt(0)
	v_add_f32_e32 v11, v11, v12
	ds_bpermute_b32 v12, v6, v11
	s_waitcnt lgkmcnt(0)
	v_add_f32_e32 v11, v11, v12
	ds_bpermute_b32 v12, v7, v11
	s_waitcnt lgkmcnt(0)
	v_add_f32_e32 v11, v11, v12
	ds_bpermute_b32 v12, v8, v11
	s_and_saveexec_b32 s2, s43
	s_cbranch_execz .LBB9_289
; %bb.288:
	v_mov_b32_e32 v13, 0
	s_waitcnt lgkmcnt(0)
	v_add_f32_e32 v11, v11, v12
	ds_read_b32 v13, v13 offset:10140
	v_sub_f32_e32 v10, v10, v11
	s_waitcnt lgkmcnt(0)
	v_div_scale_f32 v11, null, v13, v13, v10
	v_rcp_f32_e32 v12, v11
	v_fma_f32 v14, -v11, v12, 1.0
	v_fmac_f32_e32 v12, v14, v12
	v_div_scale_f32 v14, vcc_lo, v10, v13, v10
	v_mul_f32_e32 v15, v14, v12
	v_fma_f32 v16, -v11, v15, v14
	v_fmac_f32_e32 v15, v16, v12
	v_fma_f32 v11, -v11, v15, v14
	v_div_fmas_f32 v11, v11, v12, v15
	v_div_fixup_f32 v10, v11, v13, v10
.LBB9_289:
	s_or_b32 exec_lo, exec_lo, s2
	ds_read_b32 v11, v3 offset:10240
	s_waitcnt lgkmcnt(0)
	v_mul_f32_e32 v11, v9, v11
	s_and_saveexec_b32 s2, s13
	s_cbranch_execz .LBB9_291
; %bb.290:
	ds_read_b32 v12, v3 offset:10368
	s_waitcnt lgkmcnt(0)
	v_fmac_f32_e32 v11, v10, v12
.LBB9_291:
	s_or_b32 exec_lo, exec_lo, s2
	ds_bpermute_b32 v12, v4, v11
	s_waitcnt lgkmcnt(0)
	v_add_f32_e32 v11, v11, v12
	ds_bpermute_b32 v12, v5, v11
	s_waitcnt lgkmcnt(0)
	v_add_f32_e32 v11, v11, v12
	ds_bpermute_b32 v12, v6, v11
	s_waitcnt lgkmcnt(0)
	v_add_f32_e32 v11, v11, v12
	ds_bpermute_b32 v12, v7, v11
	s_waitcnt lgkmcnt(0)
	v_add_f32_e32 v11, v11, v12
	ds_bpermute_b32 v12, v8, v11
	s_and_saveexec_b32 s2, s44
	s_cbranch_execz .LBB9_293
; %bb.292:
	v_mov_b32_e32 v13, 0
	s_waitcnt lgkmcnt(0)
	v_add_f32_e32 v11, v11, v12
	ds_read_b32 v13, v13 offset:10400
	v_sub_f32_e32 v10, v10, v11
	s_waitcnt lgkmcnt(0)
	v_div_scale_f32 v11, null, v13, v13, v10
	v_rcp_f32_e32 v12, v11
	v_fma_f32 v14, -v11, v12, 1.0
	v_fmac_f32_e32 v12, v14, v12
	v_div_scale_f32 v14, vcc_lo, v10, v13, v10
	v_mul_f32_e32 v15, v14, v12
	v_fma_f32 v16, -v11, v15, v14
	v_fmac_f32_e32 v15, v16, v12
	v_fma_f32 v11, -v11, v15, v14
	v_div_fmas_f32 v11, v11, v12, v15
	v_div_fixup_f32 v10, v11, v13, v10
.LBB9_293:
	s_or_b32 exec_lo, exec_lo, s2
	ds_read_b32 v11, v3 offset:10496
	s_waitcnt lgkmcnt(0)
	v_mul_f32_e32 v11, v9, v11
	s_and_saveexec_b32 s2, s14
	s_cbranch_execz .LBB9_295
; %bb.294:
	ds_read_b32 v12, v3 offset:10624
	s_waitcnt lgkmcnt(0)
	v_fmac_f32_e32 v11, v10, v12
.LBB9_295:
	s_or_b32 exec_lo, exec_lo, s2
	ds_bpermute_b32 v12, v4, v11
	s_waitcnt lgkmcnt(0)
	v_add_f32_e32 v11, v11, v12
	ds_bpermute_b32 v12, v5, v11
	s_waitcnt lgkmcnt(0)
	v_add_f32_e32 v11, v11, v12
	ds_bpermute_b32 v12, v6, v11
	s_waitcnt lgkmcnt(0)
	v_add_f32_e32 v11, v11, v12
	ds_bpermute_b32 v12, v7, v11
	s_waitcnt lgkmcnt(0)
	v_add_f32_e32 v11, v11, v12
	ds_bpermute_b32 v12, v8, v11
	s_and_saveexec_b32 s2, s45
	s_cbranch_execz .LBB9_297
; %bb.296:
	v_mov_b32_e32 v13, 0
	s_waitcnt lgkmcnt(0)
	v_add_f32_e32 v11, v11, v12
	ds_read_b32 v13, v13 offset:10660
	v_sub_f32_e32 v10, v10, v11
	s_waitcnt lgkmcnt(0)
	v_div_scale_f32 v11, null, v13, v13, v10
	v_rcp_f32_e32 v12, v11
	v_fma_f32 v14, -v11, v12, 1.0
	v_fmac_f32_e32 v12, v14, v12
	v_div_scale_f32 v14, vcc_lo, v10, v13, v10
	v_mul_f32_e32 v15, v14, v12
	v_fma_f32 v16, -v11, v15, v14
	v_fmac_f32_e32 v15, v16, v12
	v_fma_f32 v11, -v11, v15, v14
	v_div_fmas_f32 v11, v11, v12, v15
	v_div_fixup_f32 v10, v11, v13, v10
.LBB9_297:
	s_or_b32 exec_lo, exec_lo, s2
	ds_read_b32 v11, v3 offset:10752
	s_waitcnt lgkmcnt(0)
	v_mul_f32_e32 v11, v9, v11
	s_and_saveexec_b32 s2, s15
	s_cbranch_execz .LBB9_299
; %bb.298:
	ds_read_b32 v12, v3 offset:10880
	s_waitcnt lgkmcnt(0)
	v_fmac_f32_e32 v11, v10, v12
.LBB9_299:
	s_or_b32 exec_lo, exec_lo, s2
	ds_bpermute_b32 v12, v4, v11
	s_waitcnt lgkmcnt(0)
	v_add_f32_e32 v11, v11, v12
	ds_bpermute_b32 v12, v5, v11
	s_waitcnt lgkmcnt(0)
	v_add_f32_e32 v11, v11, v12
	ds_bpermute_b32 v12, v6, v11
	s_waitcnt lgkmcnt(0)
	v_add_f32_e32 v11, v11, v12
	ds_bpermute_b32 v12, v7, v11
	s_waitcnt lgkmcnt(0)
	v_add_f32_e32 v11, v11, v12
	ds_bpermute_b32 v12, v8, v11
	s_and_saveexec_b32 s2, s46
	s_cbranch_execz .LBB9_301
; %bb.300:
	v_mov_b32_e32 v13, 0
	s_waitcnt lgkmcnt(0)
	v_add_f32_e32 v11, v11, v12
	ds_read_b32 v13, v13 offset:10920
	v_sub_f32_e32 v10, v10, v11
	s_waitcnt lgkmcnt(0)
	v_div_scale_f32 v11, null, v13, v13, v10
	v_rcp_f32_e32 v12, v11
	v_fma_f32 v14, -v11, v12, 1.0
	v_fmac_f32_e32 v12, v14, v12
	v_div_scale_f32 v14, vcc_lo, v10, v13, v10
	v_mul_f32_e32 v15, v14, v12
	v_fma_f32 v16, -v11, v15, v14
	v_fmac_f32_e32 v15, v16, v12
	v_fma_f32 v11, -v11, v15, v14
	v_div_fmas_f32 v11, v11, v12, v15
	v_div_fixup_f32 v10, v11, v13, v10
.LBB9_301:
	s_or_b32 exec_lo, exec_lo, s2
	ds_read_b32 v11, v3 offset:11008
	s_waitcnt lgkmcnt(0)
	v_mul_f32_e32 v11, v9, v11
	s_and_saveexec_b32 s2, s16
	s_cbranch_execz .LBB9_303
; %bb.302:
	ds_read_b32 v12, v3 offset:11136
	s_waitcnt lgkmcnt(0)
	v_fmac_f32_e32 v11, v10, v12
.LBB9_303:
	s_or_b32 exec_lo, exec_lo, s2
	ds_bpermute_b32 v12, v4, v11
	s_waitcnt lgkmcnt(0)
	v_add_f32_e32 v11, v11, v12
	ds_bpermute_b32 v12, v5, v11
	s_waitcnt lgkmcnt(0)
	v_add_f32_e32 v11, v11, v12
	ds_bpermute_b32 v12, v6, v11
	s_waitcnt lgkmcnt(0)
	v_add_f32_e32 v11, v11, v12
	ds_bpermute_b32 v12, v7, v11
	s_waitcnt lgkmcnt(0)
	v_add_f32_e32 v11, v11, v12
	ds_bpermute_b32 v12, v8, v11
	s_and_saveexec_b32 s2, s47
	s_cbranch_execz .LBB9_305
; %bb.304:
	v_mov_b32_e32 v13, 0
	s_waitcnt lgkmcnt(0)
	v_add_f32_e32 v11, v11, v12
	ds_read_b32 v13, v13 offset:11180
	v_sub_f32_e32 v10, v10, v11
	s_waitcnt lgkmcnt(0)
	v_div_scale_f32 v11, null, v13, v13, v10
	v_rcp_f32_e32 v12, v11
	v_fma_f32 v14, -v11, v12, 1.0
	v_fmac_f32_e32 v12, v14, v12
	v_div_scale_f32 v14, vcc_lo, v10, v13, v10
	v_mul_f32_e32 v15, v14, v12
	v_fma_f32 v16, -v11, v15, v14
	v_fmac_f32_e32 v15, v16, v12
	v_fma_f32 v11, -v11, v15, v14
	v_div_fmas_f32 v11, v11, v12, v15
	v_div_fixup_f32 v10, v11, v13, v10
.LBB9_305:
	s_or_b32 exec_lo, exec_lo, s2
	ds_read_b32 v11, v3 offset:11264
	s_waitcnt lgkmcnt(0)
	v_mul_f32_e32 v11, v9, v11
	s_and_saveexec_b32 s2, s17
	s_cbranch_execz .LBB9_307
; %bb.306:
	ds_read_b32 v12, v3 offset:11392
	s_waitcnt lgkmcnt(0)
	v_fmac_f32_e32 v11, v10, v12
.LBB9_307:
	s_or_b32 exec_lo, exec_lo, s2
	ds_bpermute_b32 v12, v4, v11
	s_waitcnt lgkmcnt(0)
	v_add_f32_e32 v11, v11, v12
	ds_bpermute_b32 v12, v5, v11
	s_waitcnt lgkmcnt(0)
	v_add_f32_e32 v11, v11, v12
	ds_bpermute_b32 v12, v6, v11
	s_waitcnt lgkmcnt(0)
	v_add_f32_e32 v11, v11, v12
	ds_bpermute_b32 v12, v7, v11
	s_waitcnt lgkmcnt(0)
	v_add_f32_e32 v11, v11, v12
	ds_bpermute_b32 v12, v8, v11
	s_and_saveexec_b32 s2, s48
	s_cbranch_execz .LBB9_309
; %bb.308:
	v_mov_b32_e32 v13, 0
	s_waitcnt lgkmcnt(0)
	v_add_f32_e32 v11, v11, v12
	ds_read_b32 v13, v13 offset:11440
	v_sub_f32_e32 v10, v10, v11
	s_waitcnt lgkmcnt(0)
	v_div_scale_f32 v11, null, v13, v13, v10
	v_rcp_f32_e32 v12, v11
	v_fma_f32 v14, -v11, v12, 1.0
	v_fmac_f32_e32 v12, v14, v12
	v_div_scale_f32 v14, vcc_lo, v10, v13, v10
	v_mul_f32_e32 v15, v14, v12
	v_fma_f32 v16, -v11, v15, v14
	v_fmac_f32_e32 v15, v16, v12
	v_fma_f32 v11, -v11, v15, v14
	v_div_fmas_f32 v11, v11, v12, v15
	v_div_fixup_f32 v10, v11, v13, v10
.LBB9_309:
	s_or_b32 exec_lo, exec_lo, s2
	ds_read_b32 v11, v3 offset:11520
	s_waitcnt lgkmcnt(0)
	v_mul_f32_e32 v11, v9, v11
	s_and_saveexec_b32 s2, s18
	s_cbranch_execz .LBB9_311
; %bb.310:
	ds_read_b32 v12, v3 offset:11648
	s_waitcnt lgkmcnt(0)
	v_fmac_f32_e32 v11, v10, v12
.LBB9_311:
	s_or_b32 exec_lo, exec_lo, s2
	ds_bpermute_b32 v12, v4, v11
	s_waitcnt lgkmcnt(0)
	v_add_f32_e32 v11, v11, v12
	ds_bpermute_b32 v12, v5, v11
	s_waitcnt lgkmcnt(0)
	v_add_f32_e32 v11, v11, v12
	ds_bpermute_b32 v12, v6, v11
	s_waitcnt lgkmcnt(0)
	v_add_f32_e32 v11, v11, v12
	ds_bpermute_b32 v12, v7, v11
	s_waitcnt lgkmcnt(0)
	v_add_f32_e32 v11, v11, v12
	ds_bpermute_b32 v12, v8, v11
	s_and_saveexec_b32 s2, s49
	s_cbranch_execz .LBB9_313
; %bb.312:
	v_mov_b32_e32 v13, 0
	s_waitcnt lgkmcnt(0)
	v_add_f32_e32 v11, v11, v12
	ds_read_b32 v13, v13 offset:11700
	v_sub_f32_e32 v10, v10, v11
	s_waitcnt lgkmcnt(0)
	v_div_scale_f32 v11, null, v13, v13, v10
	v_rcp_f32_e32 v12, v11
	v_fma_f32 v14, -v11, v12, 1.0
	v_fmac_f32_e32 v12, v14, v12
	v_div_scale_f32 v14, vcc_lo, v10, v13, v10
	v_mul_f32_e32 v15, v14, v12
	v_fma_f32 v16, -v11, v15, v14
	v_fmac_f32_e32 v15, v16, v12
	v_fma_f32 v11, -v11, v15, v14
	v_div_fmas_f32 v11, v11, v12, v15
	v_div_fixup_f32 v10, v11, v13, v10
.LBB9_313:
	s_or_b32 exec_lo, exec_lo, s2
	ds_read_b32 v11, v3 offset:11776
	s_waitcnt lgkmcnt(0)
	v_mul_f32_e32 v11, v9, v11
	s_and_saveexec_b32 s2, s19
	s_cbranch_execz .LBB9_315
; %bb.314:
	ds_read_b32 v12, v3 offset:11904
	s_waitcnt lgkmcnt(0)
	v_fmac_f32_e32 v11, v10, v12
.LBB9_315:
	s_or_b32 exec_lo, exec_lo, s2
	ds_bpermute_b32 v12, v4, v11
	s_waitcnt lgkmcnt(0)
	v_add_f32_e32 v11, v11, v12
	ds_bpermute_b32 v12, v5, v11
	s_waitcnt lgkmcnt(0)
	v_add_f32_e32 v11, v11, v12
	ds_bpermute_b32 v12, v6, v11
	s_waitcnt lgkmcnt(0)
	v_add_f32_e32 v11, v11, v12
	ds_bpermute_b32 v12, v7, v11
	s_waitcnt lgkmcnt(0)
	v_add_f32_e32 v11, v11, v12
	ds_bpermute_b32 v12, v8, v11
	s_and_saveexec_b32 s2, s50
	s_cbranch_execz .LBB9_317
; %bb.316:
	v_mov_b32_e32 v13, 0
	s_waitcnt lgkmcnt(0)
	v_add_f32_e32 v11, v11, v12
	ds_read_b32 v13, v13 offset:11960
	v_sub_f32_e32 v10, v10, v11
	s_waitcnt lgkmcnt(0)
	v_div_scale_f32 v11, null, v13, v13, v10
	v_rcp_f32_e32 v12, v11
	v_fma_f32 v14, -v11, v12, 1.0
	v_fmac_f32_e32 v12, v14, v12
	v_div_scale_f32 v14, vcc_lo, v10, v13, v10
	v_mul_f32_e32 v15, v14, v12
	v_fma_f32 v16, -v11, v15, v14
	v_fmac_f32_e32 v15, v16, v12
	v_fma_f32 v11, -v11, v15, v14
	v_div_fmas_f32 v11, v11, v12, v15
	v_div_fixup_f32 v10, v11, v13, v10
.LBB9_317:
	s_or_b32 exec_lo, exec_lo, s2
	ds_read_b32 v11, v3 offset:12032
	s_waitcnt lgkmcnt(0)
	v_mul_f32_e32 v11, v9, v11
	s_and_saveexec_b32 s2, s20
	s_cbranch_execz .LBB9_319
; %bb.318:
	ds_read_b32 v12, v3 offset:12160
	s_waitcnt lgkmcnt(0)
	v_fmac_f32_e32 v11, v10, v12
.LBB9_319:
	s_or_b32 exec_lo, exec_lo, s2
	ds_bpermute_b32 v12, v4, v11
	s_waitcnt lgkmcnt(0)
	v_add_f32_e32 v11, v11, v12
	ds_bpermute_b32 v12, v5, v11
	s_waitcnt lgkmcnt(0)
	v_add_f32_e32 v11, v11, v12
	ds_bpermute_b32 v12, v6, v11
	s_waitcnt lgkmcnt(0)
	v_add_f32_e32 v11, v11, v12
	ds_bpermute_b32 v12, v7, v11
	s_waitcnt lgkmcnt(0)
	v_add_f32_e32 v11, v11, v12
	ds_bpermute_b32 v12, v8, v11
	s_and_saveexec_b32 s2, s51
	s_cbranch_execz .LBB9_321
; %bb.320:
	v_mov_b32_e32 v13, 0
	s_waitcnt lgkmcnt(0)
	v_add_f32_e32 v11, v11, v12
	ds_read_b32 v13, v13 offset:12220
	v_sub_f32_e32 v10, v10, v11
	s_waitcnt lgkmcnt(0)
	v_div_scale_f32 v11, null, v13, v13, v10
	v_rcp_f32_e32 v12, v11
	v_fma_f32 v14, -v11, v12, 1.0
	v_fmac_f32_e32 v12, v14, v12
	v_div_scale_f32 v14, vcc_lo, v10, v13, v10
	v_mul_f32_e32 v15, v14, v12
	v_fma_f32 v16, -v11, v15, v14
	v_fmac_f32_e32 v15, v16, v12
	v_fma_f32 v11, -v11, v15, v14
	v_div_fmas_f32 v11, v11, v12, v15
	v_div_fixup_f32 v10, v11, v13, v10
.LBB9_321:
	s_or_b32 exec_lo, exec_lo, s2
	ds_read_b32 v11, v3 offset:12288
	s_waitcnt lgkmcnt(0)
	v_mul_f32_e32 v11, v9, v11
	s_and_saveexec_b32 s2, s21
	s_cbranch_execz .LBB9_323
; %bb.322:
	ds_read_b32 v12, v3 offset:12416
	s_waitcnt lgkmcnt(0)
	v_fmac_f32_e32 v11, v10, v12
.LBB9_323:
	s_or_b32 exec_lo, exec_lo, s2
	ds_bpermute_b32 v12, v4, v11
	s_waitcnt lgkmcnt(0)
	v_add_f32_e32 v11, v11, v12
	ds_bpermute_b32 v12, v5, v11
	s_waitcnt lgkmcnt(0)
	v_add_f32_e32 v11, v11, v12
	ds_bpermute_b32 v12, v6, v11
	s_waitcnt lgkmcnt(0)
	v_add_f32_e32 v11, v11, v12
	ds_bpermute_b32 v12, v7, v11
	s_waitcnt lgkmcnt(0)
	v_add_f32_e32 v11, v11, v12
	ds_bpermute_b32 v12, v8, v11
	s_and_saveexec_b32 s2, s52
	s_cbranch_execz .LBB9_325
; %bb.324:
	v_mov_b32_e32 v13, 0
	s_waitcnt lgkmcnt(0)
	v_add_f32_e32 v11, v11, v12
	ds_read_b32 v13, v13 offset:12480
	v_sub_f32_e32 v10, v10, v11
	s_waitcnt lgkmcnt(0)
	v_div_scale_f32 v11, null, v13, v13, v10
	v_rcp_f32_e32 v12, v11
	v_fma_f32 v14, -v11, v12, 1.0
	v_fmac_f32_e32 v12, v14, v12
	v_div_scale_f32 v14, vcc_lo, v10, v13, v10
	v_mul_f32_e32 v15, v14, v12
	v_fma_f32 v16, -v11, v15, v14
	v_fmac_f32_e32 v15, v16, v12
	v_fma_f32 v11, -v11, v15, v14
	v_div_fmas_f32 v11, v11, v12, v15
	v_div_fixup_f32 v10, v11, v13, v10
.LBB9_325:
	s_or_b32 exec_lo, exec_lo, s2
	ds_read_b32 v11, v3 offset:12544
	s_waitcnt lgkmcnt(0)
	v_mul_f32_e32 v11, v9, v11
	s_and_saveexec_b32 s2, s22
	s_cbranch_execz .LBB9_327
; %bb.326:
	ds_read_b32 v12, v3 offset:12672
	s_waitcnt lgkmcnt(0)
	v_fmac_f32_e32 v11, v10, v12
.LBB9_327:
	s_or_b32 exec_lo, exec_lo, s2
	ds_bpermute_b32 v12, v4, v11
	s_waitcnt lgkmcnt(0)
	v_add_f32_e32 v11, v11, v12
	ds_bpermute_b32 v12, v5, v11
	s_waitcnt lgkmcnt(0)
	v_add_f32_e32 v11, v11, v12
	ds_bpermute_b32 v12, v6, v11
	s_waitcnt lgkmcnt(0)
	v_add_f32_e32 v11, v11, v12
	ds_bpermute_b32 v12, v7, v11
	s_waitcnt lgkmcnt(0)
	v_add_f32_e32 v11, v11, v12
	ds_bpermute_b32 v12, v8, v11
	s_and_saveexec_b32 s2, s53
	s_cbranch_execz .LBB9_329
; %bb.328:
	v_mov_b32_e32 v13, 0
	s_waitcnt lgkmcnt(0)
	v_add_f32_e32 v11, v11, v12
	ds_read_b32 v13, v13 offset:12740
	v_sub_f32_e32 v10, v10, v11
	s_waitcnt lgkmcnt(0)
	v_div_scale_f32 v11, null, v13, v13, v10
	v_rcp_f32_e32 v12, v11
	v_fma_f32 v14, -v11, v12, 1.0
	v_fmac_f32_e32 v12, v14, v12
	v_div_scale_f32 v14, vcc_lo, v10, v13, v10
	v_mul_f32_e32 v15, v14, v12
	v_fma_f32 v16, -v11, v15, v14
	v_fmac_f32_e32 v15, v16, v12
	v_fma_f32 v11, -v11, v15, v14
	v_div_fmas_f32 v11, v11, v12, v15
	v_div_fixup_f32 v10, v11, v13, v10
.LBB9_329:
	s_or_b32 exec_lo, exec_lo, s2
	ds_read_b32 v11, v3 offset:12800
	s_waitcnt lgkmcnt(0)
	v_mul_f32_e32 v11, v9, v11
	s_and_saveexec_b32 s2, s23
	s_cbranch_execz .LBB9_331
; %bb.330:
	ds_read_b32 v12, v3 offset:12928
	s_waitcnt lgkmcnt(0)
	v_fmac_f32_e32 v11, v10, v12
.LBB9_331:
	s_or_b32 exec_lo, exec_lo, s2
	ds_bpermute_b32 v12, v4, v11
	s_waitcnt lgkmcnt(0)
	v_add_f32_e32 v11, v11, v12
	ds_bpermute_b32 v12, v5, v11
	s_waitcnt lgkmcnt(0)
	v_add_f32_e32 v11, v11, v12
	ds_bpermute_b32 v12, v6, v11
	s_waitcnt lgkmcnt(0)
	v_add_f32_e32 v11, v11, v12
	ds_bpermute_b32 v12, v7, v11
	s_waitcnt lgkmcnt(0)
	v_add_f32_e32 v11, v11, v12
	ds_bpermute_b32 v12, v8, v11
	s_and_saveexec_b32 s2, s54
	s_cbranch_execz .LBB9_333
; %bb.332:
	v_mov_b32_e32 v13, 0
	s_waitcnt lgkmcnt(0)
	v_add_f32_e32 v11, v11, v12
	ds_read_b32 v13, v13 offset:13000
	v_sub_f32_e32 v10, v10, v11
	s_waitcnt lgkmcnt(0)
	v_div_scale_f32 v11, null, v13, v13, v10
	v_rcp_f32_e32 v12, v11
	v_fma_f32 v14, -v11, v12, 1.0
	v_fmac_f32_e32 v12, v14, v12
	v_div_scale_f32 v14, vcc_lo, v10, v13, v10
	v_mul_f32_e32 v15, v14, v12
	v_fma_f32 v16, -v11, v15, v14
	v_fmac_f32_e32 v15, v16, v12
	v_fma_f32 v11, -v11, v15, v14
	v_div_fmas_f32 v11, v11, v12, v15
	v_div_fixup_f32 v10, v11, v13, v10
.LBB9_333:
	s_or_b32 exec_lo, exec_lo, s2
	ds_read_b32 v11, v3 offset:13056
	s_waitcnt lgkmcnt(0)
	v_mul_f32_e32 v11, v9, v11
	s_and_saveexec_b32 s2, s24
	s_cbranch_execz .LBB9_335
; %bb.334:
	ds_read_b32 v12, v3 offset:13184
	s_waitcnt lgkmcnt(0)
	v_fmac_f32_e32 v11, v10, v12
.LBB9_335:
	s_or_b32 exec_lo, exec_lo, s2
	ds_bpermute_b32 v12, v4, v11
	s_waitcnt lgkmcnt(0)
	v_add_f32_e32 v11, v11, v12
	ds_bpermute_b32 v12, v5, v11
	s_waitcnt lgkmcnt(0)
	v_add_f32_e32 v11, v11, v12
	ds_bpermute_b32 v12, v6, v11
	s_waitcnt lgkmcnt(0)
	v_add_f32_e32 v11, v11, v12
	ds_bpermute_b32 v12, v7, v11
	s_waitcnt lgkmcnt(0)
	v_add_f32_e32 v11, v11, v12
	ds_bpermute_b32 v12, v8, v11
	s_and_saveexec_b32 s2, s55
	s_cbranch_execz .LBB9_337
; %bb.336:
	v_mov_b32_e32 v13, 0
	s_waitcnt lgkmcnt(0)
	v_add_f32_e32 v11, v11, v12
	ds_read_b32 v13, v13 offset:13260
	v_sub_f32_e32 v10, v10, v11
	s_waitcnt lgkmcnt(0)
	v_div_scale_f32 v11, null, v13, v13, v10
	v_rcp_f32_e32 v12, v11
	v_fma_f32 v14, -v11, v12, 1.0
	v_fmac_f32_e32 v12, v14, v12
	v_div_scale_f32 v14, vcc_lo, v10, v13, v10
	v_mul_f32_e32 v15, v14, v12
	v_fma_f32 v16, -v11, v15, v14
	v_fmac_f32_e32 v15, v16, v12
	v_fma_f32 v11, -v11, v15, v14
	v_div_fmas_f32 v11, v11, v12, v15
	v_div_fixup_f32 v10, v11, v13, v10
.LBB9_337:
	s_or_b32 exec_lo, exec_lo, s2
	ds_read_b32 v11, v3 offset:13312
	s_waitcnt lgkmcnt(0)
	v_mul_f32_e32 v11, v9, v11
	s_and_saveexec_b32 s2, s25
	s_cbranch_execz .LBB9_339
; %bb.338:
	ds_read_b32 v12, v3 offset:13440
	s_waitcnt lgkmcnt(0)
	v_fmac_f32_e32 v11, v10, v12
.LBB9_339:
	s_or_b32 exec_lo, exec_lo, s2
	ds_bpermute_b32 v12, v4, v11
	s_waitcnt lgkmcnt(0)
	v_add_f32_e32 v11, v11, v12
	ds_bpermute_b32 v12, v5, v11
	s_waitcnt lgkmcnt(0)
	v_add_f32_e32 v11, v11, v12
	ds_bpermute_b32 v12, v6, v11
	s_waitcnt lgkmcnt(0)
	v_add_f32_e32 v11, v11, v12
	ds_bpermute_b32 v12, v7, v11
	s_waitcnt lgkmcnt(0)
	v_add_f32_e32 v11, v11, v12
	ds_bpermute_b32 v12, v8, v11
	s_and_saveexec_b32 s2, s56
	s_cbranch_execz .LBB9_341
; %bb.340:
	v_mov_b32_e32 v13, 0
	s_waitcnt lgkmcnt(0)
	v_add_f32_e32 v11, v11, v12
	ds_read_b32 v13, v13 offset:13520
	v_sub_f32_e32 v10, v10, v11
	s_waitcnt lgkmcnt(0)
	v_div_scale_f32 v11, null, v13, v13, v10
	v_rcp_f32_e32 v12, v11
	v_fma_f32 v14, -v11, v12, 1.0
	v_fmac_f32_e32 v12, v14, v12
	v_div_scale_f32 v14, vcc_lo, v10, v13, v10
	v_mul_f32_e32 v15, v14, v12
	v_fma_f32 v16, -v11, v15, v14
	v_fmac_f32_e32 v15, v16, v12
	v_fma_f32 v11, -v11, v15, v14
	v_div_fmas_f32 v11, v11, v12, v15
	v_div_fixup_f32 v10, v11, v13, v10
.LBB9_341:
	s_or_b32 exec_lo, exec_lo, s2
	ds_read_b32 v11, v3 offset:13568
	s_waitcnt lgkmcnt(0)
	v_mul_f32_e32 v11, v9, v11
	s_and_saveexec_b32 s2, s26
	s_cbranch_execz .LBB9_343
; %bb.342:
	ds_read_b32 v12, v3 offset:13696
	s_waitcnt lgkmcnt(0)
	v_fmac_f32_e32 v11, v10, v12
.LBB9_343:
	s_or_b32 exec_lo, exec_lo, s2
	ds_bpermute_b32 v12, v4, v11
	s_waitcnt lgkmcnt(0)
	v_add_f32_e32 v11, v11, v12
	ds_bpermute_b32 v12, v5, v11
	s_waitcnt lgkmcnt(0)
	v_add_f32_e32 v11, v11, v12
	ds_bpermute_b32 v12, v6, v11
	s_waitcnt lgkmcnt(0)
	v_add_f32_e32 v11, v11, v12
	ds_bpermute_b32 v12, v7, v11
	s_waitcnt lgkmcnt(0)
	v_add_f32_e32 v11, v11, v12
	ds_bpermute_b32 v12, v8, v11
	s_and_saveexec_b32 s2, s57
	s_cbranch_execz .LBB9_345
; %bb.344:
	v_mov_b32_e32 v13, 0
	s_waitcnt lgkmcnt(0)
	v_add_f32_e32 v11, v11, v12
	ds_read_b32 v13, v13 offset:13780
	v_sub_f32_e32 v10, v10, v11
	s_waitcnt lgkmcnt(0)
	v_div_scale_f32 v11, null, v13, v13, v10
	v_rcp_f32_e32 v12, v11
	v_fma_f32 v14, -v11, v12, 1.0
	v_fmac_f32_e32 v12, v14, v12
	v_div_scale_f32 v14, vcc_lo, v10, v13, v10
	v_mul_f32_e32 v15, v14, v12
	v_fma_f32 v16, -v11, v15, v14
	v_fmac_f32_e32 v15, v16, v12
	v_fma_f32 v11, -v11, v15, v14
	v_div_fmas_f32 v11, v11, v12, v15
	v_div_fixup_f32 v10, v11, v13, v10
.LBB9_345:
	s_or_b32 exec_lo, exec_lo, s2
	ds_read_b32 v11, v3 offset:13824
	s_waitcnt lgkmcnt(0)
	v_mul_f32_e32 v11, v9, v11
	s_and_saveexec_b32 s2, s27
	s_cbranch_execz .LBB9_347
; %bb.346:
	ds_read_b32 v12, v3 offset:13952
	s_waitcnt lgkmcnt(0)
	v_fmac_f32_e32 v11, v10, v12
.LBB9_347:
	s_or_b32 exec_lo, exec_lo, s2
	ds_bpermute_b32 v12, v4, v11
	s_waitcnt lgkmcnt(0)
	v_add_f32_e32 v11, v11, v12
	ds_bpermute_b32 v12, v5, v11
	s_waitcnt lgkmcnt(0)
	v_add_f32_e32 v11, v11, v12
	ds_bpermute_b32 v12, v6, v11
	s_waitcnt lgkmcnt(0)
	v_add_f32_e32 v11, v11, v12
	ds_bpermute_b32 v12, v7, v11
	s_waitcnt lgkmcnt(0)
	v_add_f32_e32 v11, v11, v12
	ds_bpermute_b32 v12, v8, v11
	s_and_saveexec_b32 s2, s58
	s_cbranch_execz .LBB9_349
; %bb.348:
	v_mov_b32_e32 v13, 0
	s_waitcnt lgkmcnt(0)
	v_add_f32_e32 v11, v11, v12
	ds_read_b32 v13, v13 offset:14040
	v_sub_f32_e32 v10, v10, v11
	s_waitcnt lgkmcnt(0)
	v_div_scale_f32 v11, null, v13, v13, v10
	v_rcp_f32_e32 v12, v11
	v_fma_f32 v14, -v11, v12, 1.0
	v_fmac_f32_e32 v12, v14, v12
	v_div_scale_f32 v14, vcc_lo, v10, v13, v10
	v_mul_f32_e32 v15, v14, v12
	v_fma_f32 v16, -v11, v15, v14
	v_fmac_f32_e32 v15, v16, v12
	v_fma_f32 v11, -v11, v15, v14
	v_div_fmas_f32 v11, v11, v12, v15
	v_div_fixup_f32 v10, v11, v13, v10
.LBB9_349:
	s_or_b32 exec_lo, exec_lo, s2
	ds_read_b32 v11, v3 offset:14080
	s_waitcnt lgkmcnt(0)
	v_mul_f32_e32 v11, v9, v11
	s_and_saveexec_b32 s2, s28
	s_cbranch_execz .LBB9_351
; %bb.350:
	ds_read_b32 v12, v3 offset:14208
	s_waitcnt lgkmcnt(0)
	v_fmac_f32_e32 v11, v10, v12
.LBB9_351:
	s_or_b32 exec_lo, exec_lo, s2
	ds_bpermute_b32 v12, v4, v11
	s_waitcnt lgkmcnt(0)
	v_add_f32_e32 v11, v11, v12
	ds_bpermute_b32 v12, v5, v11
	s_waitcnt lgkmcnt(0)
	v_add_f32_e32 v11, v11, v12
	ds_bpermute_b32 v12, v6, v11
	s_waitcnt lgkmcnt(0)
	v_add_f32_e32 v11, v11, v12
	ds_bpermute_b32 v12, v7, v11
	s_waitcnt lgkmcnt(0)
	v_add_f32_e32 v11, v11, v12
	ds_bpermute_b32 v12, v8, v11
	s_and_saveexec_b32 s2, s59
	s_cbranch_execz .LBB9_353
; %bb.352:
	v_mov_b32_e32 v13, 0
	s_waitcnt lgkmcnt(0)
	v_add_f32_e32 v11, v11, v12
	ds_read_b32 v13, v13 offset:14300
	v_sub_f32_e32 v10, v10, v11
	s_waitcnt lgkmcnt(0)
	v_div_scale_f32 v11, null, v13, v13, v10
	v_rcp_f32_e32 v12, v11
	v_fma_f32 v14, -v11, v12, 1.0
	v_fmac_f32_e32 v12, v14, v12
	v_div_scale_f32 v14, vcc_lo, v10, v13, v10
	v_mul_f32_e32 v15, v14, v12
	v_fma_f32 v16, -v11, v15, v14
	v_fmac_f32_e32 v15, v16, v12
	v_fma_f32 v11, -v11, v15, v14
	v_div_fmas_f32 v11, v11, v12, v15
	v_div_fixup_f32 v10, v11, v13, v10
.LBB9_353:
	s_or_b32 exec_lo, exec_lo, s2
	ds_read_b32 v11, v3 offset:14336
	s_waitcnt lgkmcnt(0)
	v_mul_f32_e32 v11, v9, v11
	s_and_saveexec_b32 s2, s29
	s_cbranch_execz .LBB9_355
; %bb.354:
	ds_read_b32 v12, v3 offset:14464
	s_waitcnt lgkmcnt(0)
	v_fmac_f32_e32 v11, v10, v12
.LBB9_355:
	s_or_b32 exec_lo, exec_lo, s2
	ds_bpermute_b32 v12, v4, v11
	s_waitcnt lgkmcnt(0)
	v_add_f32_e32 v11, v11, v12
	ds_bpermute_b32 v12, v5, v11
	s_waitcnt lgkmcnt(0)
	v_add_f32_e32 v11, v11, v12
	ds_bpermute_b32 v12, v6, v11
	s_waitcnt lgkmcnt(0)
	v_add_f32_e32 v11, v11, v12
	ds_bpermute_b32 v12, v7, v11
	s_waitcnt lgkmcnt(0)
	v_add_f32_e32 v11, v11, v12
	ds_bpermute_b32 v12, v8, v11
	s_and_saveexec_b32 s2, s60
	s_cbranch_execz .LBB9_357
; %bb.356:
	v_mov_b32_e32 v13, 0
	s_waitcnt lgkmcnt(0)
	v_add_f32_e32 v11, v11, v12
	ds_read_b32 v13, v13 offset:14560
	v_sub_f32_e32 v10, v10, v11
	s_waitcnt lgkmcnt(0)
	v_div_scale_f32 v11, null, v13, v13, v10
	v_rcp_f32_e32 v12, v11
	v_fma_f32 v14, -v11, v12, 1.0
	v_fmac_f32_e32 v12, v14, v12
	v_div_scale_f32 v14, vcc_lo, v10, v13, v10
	v_mul_f32_e32 v15, v14, v12
	v_fma_f32 v16, -v11, v15, v14
	v_fmac_f32_e32 v15, v16, v12
	v_fma_f32 v11, -v11, v15, v14
	v_div_fmas_f32 v11, v11, v12, v15
	v_div_fixup_f32 v10, v11, v13, v10
.LBB9_357:
	s_or_b32 exec_lo, exec_lo, s2
	ds_read_b32 v11, v3 offset:14592
	s_waitcnt lgkmcnt(0)
	v_mul_f32_e32 v11, v9, v11
	s_and_saveexec_b32 s2, s30
	s_cbranch_execz .LBB9_359
; %bb.358:
	ds_read_b32 v12, v3 offset:14720
	s_waitcnt lgkmcnt(0)
	v_fmac_f32_e32 v11, v10, v12
.LBB9_359:
	s_or_b32 exec_lo, exec_lo, s2
	ds_bpermute_b32 v12, v4, v11
	s_waitcnt lgkmcnt(0)
	v_add_f32_e32 v11, v11, v12
	ds_bpermute_b32 v12, v5, v11
	s_waitcnt lgkmcnt(0)
	v_add_f32_e32 v11, v11, v12
	ds_bpermute_b32 v12, v6, v11
	s_waitcnt lgkmcnt(0)
	v_add_f32_e32 v11, v11, v12
	ds_bpermute_b32 v12, v7, v11
	s_waitcnt lgkmcnt(0)
	v_add_f32_e32 v11, v11, v12
	ds_bpermute_b32 v12, v8, v11
	s_and_saveexec_b32 s2, s61
	s_cbranch_execz .LBB9_361
; %bb.360:
	v_mov_b32_e32 v13, 0
	s_waitcnt lgkmcnt(0)
	v_add_f32_e32 v11, v11, v12
	ds_read_b32 v13, v13 offset:14820
	v_sub_f32_e32 v10, v10, v11
	s_waitcnt lgkmcnt(0)
	v_div_scale_f32 v11, null, v13, v13, v10
	v_rcp_f32_e32 v12, v11
	v_fma_f32 v14, -v11, v12, 1.0
	v_fmac_f32_e32 v12, v14, v12
	v_div_scale_f32 v14, vcc_lo, v10, v13, v10
	v_mul_f32_e32 v15, v14, v12
	v_fma_f32 v16, -v11, v15, v14
	v_fmac_f32_e32 v15, v16, v12
	v_fma_f32 v11, -v11, v15, v14
	v_div_fmas_f32 v11, v11, v12, v15
	v_div_fixup_f32 v10, v11, v13, v10
.LBB9_361:
	s_or_b32 exec_lo, exec_lo, s2
	ds_read_b32 v11, v3 offset:14848
	s_waitcnt lgkmcnt(0)
	v_mul_f32_e32 v11, v9, v11
	s_and_saveexec_b32 s2, s31
	s_cbranch_execz .LBB9_363
; %bb.362:
	ds_read_b32 v12, v3 offset:14976
	s_waitcnt lgkmcnt(0)
	v_fmac_f32_e32 v11, v10, v12
.LBB9_363:
	s_or_b32 exec_lo, exec_lo, s2
	ds_bpermute_b32 v12, v4, v11
	s_waitcnt lgkmcnt(0)
	v_add_f32_e32 v11, v11, v12
	ds_bpermute_b32 v12, v5, v11
	s_waitcnt lgkmcnt(0)
	v_add_f32_e32 v11, v11, v12
	ds_bpermute_b32 v12, v6, v11
	s_waitcnt lgkmcnt(0)
	v_add_f32_e32 v11, v11, v12
	ds_bpermute_b32 v12, v7, v11
	s_waitcnt lgkmcnt(0)
	v_add_f32_e32 v11, v11, v12
	ds_bpermute_b32 v12, v8, v11
	s_and_saveexec_b32 s2, s62
	s_cbranch_execz .LBB9_365
; %bb.364:
	v_mov_b32_e32 v13, 0
	s_waitcnt lgkmcnt(0)
	v_add_f32_e32 v11, v11, v12
	ds_read_b32 v13, v13 offset:15080
	v_sub_f32_e32 v10, v10, v11
	s_waitcnt lgkmcnt(0)
	v_div_scale_f32 v11, null, v13, v13, v10
	v_rcp_f32_e32 v12, v11
	v_fma_f32 v14, -v11, v12, 1.0
	v_fmac_f32_e32 v12, v14, v12
	v_div_scale_f32 v14, vcc_lo, v10, v13, v10
	v_mul_f32_e32 v15, v14, v12
	v_fma_f32 v16, -v11, v15, v14
	v_fmac_f32_e32 v15, v16, v12
	v_fma_f32 v11, -v11, v15, v14
	v_div_fmas_f32 v11, v11, v12, v15
	v_div_fixup_f32 v10, v11, v13, v10
.LBB9_365:
	s_or_b32 exec_lo, exec_lo, s2
	ds_read_b32 v11, v3 offset:15104
	s_waitcnt lgkmcnt(0)
	v_mul_f32_e32 v11, v9, v11
	s_and_saveexec_b32 s2, s33
	s_cbranch_execz .LBB9_367
; %bb.366:
	ds_read_b32 v12, v3 offset:15232
	s_waitcnt lgkmcnt(0)
	v_fmac_f32_e32 v11, v10, v12
.LBB9_367:
	s_or_b32 exec_lo, exec_lo, s2
	ds_bpermute_b32 v12, v4, v11
	s_waitcnt lgkmcnt(0)
	v_add_f32_e32 v11, v11, v12
	ds_bpermute_b32 v12, v5, v11
	s_waitcnt lgkmcnt(0)
	v_add_f32_e32 v11, v11, v12
	ds_bpermute_b32 v12, v6, v11
	s_waitcnt lgkmcnt(0)
	v_add_f32_e32 v11, v11, v12
	ds_bpermute_b32 v12, v7, v11
	s_waitcnt lgkmcnt(0)
	v_add_f32_e32 v11, v11, v12
	ds_bpermute_b32 v12, v8, v11
	s_and_saveexec_b32 s2, s63
	s_cbranch_execz .LBB9_369
; %bb.368:
	v_mov_b32_e32 v13, 0
	s_waitcnt lgkmcnt(0)
	v_add_f32_e32 v11, v11, v12
	ds_read_b32 v13, v13 offset:15340
	v_sub_f32_e32 v10, v10, v11
	s_waitcnt lgkmcnt(0)
	v_div_scale_f32 v11, null, v13, v13, v10
	v_rcp_f32_e32 v12, v11
	v_fma_f32 v14, -v11, v12, 1.0
	v_fmac_f32_e32 v12, v14, v12
	v_div_scale_f32 v14, vcc_lo, v10, v13, v10
	v_mul_f32_e32 v15, v14, v12
	v_fma_f32 v16, -v11, v15, v14
	v_fmac_f32_e32 v15, v16, v12
	v_fma_f32 v11, -v11, v15, v14
	v_div_fmas_f32 v11, v11, v12, v15
	v_div_fixup_f32 v10, v11, v13, v10
.LBB9_369:
	s_or_b32 exec_lo, exec_lo, s2
	ds_read_b32 v11, v3 offset:15360
	s_waitcnt lgkmcnt(0)
	v_mul_f32_e32 v11, v9, v11
	s_and_saveexec_b32 s2, s34
	s_cbranch_execz .LBB9_371
; %bb.370:
	ds_read_b32 v12, v3 offset:15488
	s_waitcnt lgkmcnt(0)
	v_fmac_f32_e32 v11, v10, v12
.LBB9_371:
	s_or_b32 exec_lo, exec_lo, s2
	ds_bpermute_b32 v12, v4, v11
	s_waitcnt lgkmcnt(0)
	v_add_f32_e32 v11, v11, v12
	ds_bpermute_b32 v12, v5, v11
	s_waitcnt lgkmcnt(0)
	v_add_f32_e32 v11, v11, v12
	ds_bpermute_b32 v12, v6, v11
	s_waitcnt lgkmcnt(0)
	v_add_f32_e32 v11, v11, v12
	ds_bpermute_b32 v12, v7, v11
	s_waitcnt lgkmcnt(0)
	v_add_f32_e32 v11, v11, v12
	ds_bpermute_b32 v12, v8, v11
	s_and_saveexec_b32 s2, s64
	s_cbranch_execz .LBB9_373
; %bb.372:
	v_mov_b32_e32 v13, 0
	s_waitcnt lgkmcnt(0)
	v_add_f32_e32 v11, v11, v12
	ds_read_b32 v13, v13 offset:15600
	v_sub_f32_e32 v10, v10, v11
	s_waitcnt lgkmcnt(0)
	v_div_scale_f32 v11, null, v13, v13, v10
	v_rcp_f32_e32 v12, v11
	v_fma_f32 v14, -v11, v12, 1.0
	v_fmac_f32_e32 v12, v14, v12
	v_div_scale_f32 v14, vcc_lo, v10, v13, v10
	v_mul_f32_e32 v15, v14, v12
	v_fma_f32 v16, -v11, v15, v14
	v_fmac_f32_e32 v15, v16, v12
	v_fma_f32 v11, -v11, v15, v14
	v_div_fmas_f32 v11, v11, v12, v15
	v_div_fixup_f32 v10, v11, v13, v10
.LBB9_373:
	s_or_b32 exec_lo, exec_lo, s2
	ds_read_b32 v11, v3 offset:15616
	s_waitcnt lgkmcnt(0)
	v_mul_f32_e32 v11, v9, v11
	s_and_saveexec_b32 s2, s35
	s_cbranch_execz .LBB9_375
; %bb.374:
	ds_read_b32 v12, v3 offset:15744
	s_waitcnt lgkmcnt(0)
	v_fmac_f32_e32 v11, v10, v12
.LBB9_375:
	s_or_b32 exec_lo, exec_lo, s2
	ds_bpermute_b32 v12, v4, v11
	s_waitcnt lgkmcnt(0)
	v_add_f32_e32 v11, v11, v12
	ds_bpermute_b32 v12, v5, v11
	s_waitcnt lgkmcnt(0)
	v_add_f32_e32 v11, v11, v12
	ds_bpermute_b32 v12, v6, v11
	s_waitcnt lgkmcnt(0)
	v_add_f32_e32 v11, v11, v12
	ds_bpermute_b32 v12, v7, v11
	s_waitcnt lgkmcnt(0)
	v_add_f32_e32 v11, v11, v12
	ds_bpermute_b32 v12, v8, v11
	s_and_saveexec_b32 s2, s65
	s_cbranch_execz .LBB9_377
; %bb.376:
	v_mov_b32_e32 v13, 0
	s_waitcnt lgkmcnt(0)
	v_add_f32_e32 v11, v11, v12
	ds_read_b32 v13, v13 offset:15860
	v_sub_f32_e32 v10, v10, v11
	s_waitcnt lgkmcnt(0)
	v_div_scale_f32 v11, null, v13, v13, v10
	v_rcp_f32_e32 v12, v11
	v_fma_f32 v14, -v11, v12, 1.0
	v_fmac_f32_e32 v12, v14, v12
	v_div_scale_f32 v14, vcc_lo, v10, v13, v10
	v_mul_f32_e32 v15, v14, v12
	v_fma_f32 v16, -v11, v15, v14
	v_fmac_f32_e32 v15, v16, v12
	v_fma_f32 v11, -v11, v15, v14
	v_div_fmas_f32 v11, v11, v12, v15
	v_div_fixup_f32 v10, v11, v13, v10
.LBB9_377:
	s_or_b32 exec_lo, exec_lo, s2
	ds_read_b32 v11, v3 offset:15872
	s_waitcnt lgkmcnt(0)
	v_mul_f32_e32 v11, v9, v11
	s_and_saveexec_b32 s2, s36
	s_cbranch_execz .LBB9_379
; %bb.378:
	ds_read_b32 v12, v3 offset:16000
	s_waitcnt lgkmcnt(0)
	v_fmac_f32_e32 v11, v10, v12
.LBB9_379:
	s_or_b32 exec_lo, exec_lo, s2
	ds_bpermute_b32 v12, v4, v11
	s_waitcnt lgkmcnt(0)
	v_add_f32_e32 v11, v11, v12
	ds_bpermute_b32 v12, v5, v11
	s_waitcnt lgkmcnt(0)
	v_add_f32_e32 v11, v11, v12
	ds_bpermute_b32 v12, v6, v11
	s_waitcnt lgkmcnt(0)
	v_add_f32_e32 v11, v11, v12
	;; [unrolled: 3-line block ×3, first 2 shown]
	ds_bpermute_b32 v12, v8, v11
	s_and_saveexec_b32 s2, s66
	s_cbranch_execz .LBB9_381
; %bb.380:
	v_mov_b32_e32 v13, 0
	s_waitcnt lgkmcnt(0)
	v_add_f32_e32 v11, v11, v12
	ds_read_b32 v13, v13 offset:16120
	v_sub_f32_e32 v10, v10, v11
	s_waitcnt lgkmcnt(0)
	v_div_scale_f32 v11, null, v13, v13, v10
	v_rcp_f32_e32 v12, v11
	v_fma_f32 v14, -v11, v12, 1.0
	v_fmac_f32_e32 v12, v14, v12
	v_div_scale_f32 v14, vcc_lo, v10, v13, v10
	v_mul_f32_e32 v15, v14, v12
	v_fma_f32 v16, -v11, v15, v14
	v_fmac_f32_e32 v15, v16, v12
	v_fma_f32 v11, -v11, v15, v14
	v_div_fmas_f32 v11, v11, v12, v15
	v_div_fixup_f32 v10, v11, v13, v10
.LBB9_381:
	s_or_b32 exec_lo, exec_lo, s2
	ds_read_b32 v11, v3 offset:16128
	s_load_dwordx2 s[4:5], s[4:5], 0x10
	s_waitcnt lgkmcnt(0)
	v_mul_f32_e32 v11, v9, v11
	s_and_saveexec_b32 s2, s3
	s_cbranch_execz .LBB9_383
; %bb.382:
	ds_read_b32 v3, v3 offset:16256
	s_waitcnt lgkmcnt(0)
	v_fmac_f32_e32 v11, v10, v3
.LBB9_383:
	s_or_b32 exec_lo, exec_lo, s2
	ds_bpermute_b32 v3, v4, v11
	s_waitcnt lgkmcnt(0)
	v_add_f32_e32 v3, v11, v3
	ds_bpermute_b32 v4, v5, v3
	s_waitcnt lgkmcnt(0)
	v_add_f32_e32 v3, v3, v4
	;; [unrolled: 3-line block ×4, first 2 shown]
	ds_bpermute_b32 v4, v8, v3
	s_and_saveexec_b32 s2, s6
	s_cbranch_execz .LBB9_385
; %bb.384:
	v_mov_b32_e32 v5, 0
	s_waitcnt lgkmcnt(0)
	v_add_f32_e32 v3, v3, v4
	ds_read_b32 v5, v5 offset:16380
	v_sub_f32_e32 v3, v10, v3
	s_waitcnt lgkmcnt(0)
	v_div_scale_f32 v4, null, v5, v5, v3
	v_rcp_f32_e32 v6, v4
	v_fma_f32 v7, -v4, v6, 1.0
	v_fmac_f32_e32 v6, v7, v6
	v_div_scale_f32 v7, vcc_lo, v3, v5, v3
	v_mul_f32_e32 v8, v7, v6
	v_fma_f32 v10, -v4, v8, v7
	v_fmac_f32_e32 v8, v10, v6
	v_fma_f32 v4, -v4, v8, v7
	v_div_fmas_f32 v4, v4, v6, v8
	v_div_fixup_f32 v10, v4, v5, v3
.LBB9_385:
	s_or_b32 exec_lo, exec_lo, s2
	s_mul_i32 s2, s69, s72
	s_mul_hi_u32 s3, s68, s72
	s_mul_i32 s6, s71, s67
	s_add_i32 s3, s3, s2
	s_mul_i32 s2, s68, s72
	s_mul_hi_u32 s7, s70, s67
	s_lshl_b64 s[2:3], s[2:3], 2
	s_add_i32 s7, s7, s6
	s_mul_i32 s6, s70, s67
	s_add_u32 s4, s4, s2
	s_addc_u32 s5, s5, s3
	s_lshl_b64 s[2:3], s[6:7], 2
	s_add_u32 s2, s4, s2
	s_addc_u32 s3, s5, s3
	s_and_saveexec_b32 s4, s0
	s_cbranch_execz .LBB9_387
; %bb.386:
	v_lshl_or_b32 v0, v0, 3, v1
	v_cndmask_b32_e64 v3, v10, v9, s1
	global_store_dword v0, v3, s[2:3]
.LBB9_387:
	s_or_b32 exec_lo, exec_lo, s4
	s_and_b32 exec_lo, exec_lo, s1
	s_cbranch_execz .LBB9_389
; %bb.388:
	v_lshl_or_b32 v0, v2, 3, v1
	global_store_dword v0, v10, s[2:3]
.LBB9_389:
	s_endpgm
	.section	.rodata,"a",@progbits
	.p2align	6, 0x0
	.amdhsa_kernel _ZL18solve_tri_f32_fastILi64ELi2EEvPKfS1_Pf15HIP_vector_typeIjLj3EEmmmmmmii
		.amdhsa_group_segment_fixed_size 16384
		.amdhsa_private_segment_fixed_size 0
		.amdhsa_kernarg_size 352
		.amdhsa_user_sgpr_count 6
		.amdhsa_user_sgpr_private_segment_buffer 1
		.amdhsa_user_sgpr_dispatch_ptr 0
		.amdhsa_user_sgpr_queue_ptr 0
		.amdhsa_user_sgpr_kernarg_segment_ptr 1
		.amdhsa_user_sgpr_dispatch_id 0
		.amdhsa_user_sgpr_flat_scratch_init 0
		.amdhsa_user_sgpr_private_segment_size 0
		.amdhsa_wavefront_size32 1
		.amdhsa_uses_dynamic_stack 0
		.amdhsa_system_sgpr_private_segment_wavefront_offset 0
		.amdhsa_system_sgpr_workgroup_id_x 1
		.amdhsa_system_sgpr_workgroup_id_y 0
		.amdhsa_system_sgpr_workgroup_id_z 0
		.amdhsa_system_sgpr_workgroup_info 0
		.amdhsa_system_vgpr_workitem_id 1
		.amdhsa_next_free_vgpr 17
		.amdhsa_next_free_sgpr 74
		.amdhsa_reserve_vcc 1
		.amdhsa_reserve_flat_scratch 0
		.amdhsa_float_round_mode_32 0
		.amdhsa_float_round_mode_16_64 0
		.amdhsa_float_denorm_mode_32 3
		.amdhsa_float_denorm_mode_16_64 3
		.amdhsa_dx10_clamp 1
		.amdhsa_ieee_mode 1
		.amdhsa_fp16_overflow 0
		.amdhsa_workgroup_processor_mode 1
		.amdhsa_memory_ordered 1
		.amdhsa_forward_progress 1
		.amdhsa_shared_vgpr_count 0
		.amdhsa_exception_fp_ieee_invalid_op 0
		.amdhsa_exception_fp_denorm_src 0
		.amdhsa_exception_fp_ieee_div_zero 0
		.amdhsa_exception_fp_ieee_overflow 0
		.amdhsa_exception_fp_ieee_underflow 0
		.amdhsa_exception_fp_ieee_inexact 0
		.amdhsa_exception_int_div_zero 0
	.end_amdhsa_kernel
	.section	.text._ZL18solve_tri_f32_fastILi64ELi2EEvPKfS1_Pf15HIP_vector_typeIjLj3EEmmmmmmii,"axG",@progbits,_ZL18solve_tri_f32_fastILi64ELi2EEvPKfS1_Pf15HIP_vector_typeIjLj3EEmmmmmmii,comdat
.Lfunc_end9:
	.size	_ZL18solve_tri_f32_fastILi64ELi2EEvPKfS1_Pf15HIP_vector_typeIjLj3EEmmmmmmii, .Lfunc_end9-_ZL18solve_tri_f32_fastILi64ELi2EEvPKfS1_Pf15HIP_vector_typeIjLj3EEmmmmmmii
                                        ; -- End function
	.set _ZL18solve_tri_f32_fastILi64ELi2EEvPKfS1_Pf15HIP_vector_typeIjLj3EEmmmmmmii.num_vgpr, 17
	.set _ZL18solve_tri_f32_fastILi64ELi2EEvPKfS1_Pf15HIP_vector_typeIjLj3EEmmmmmmii.num_agpr, 0
	.set _ZL18solve_tri_f32_fastILi64ELi2EEvPKfS1_Pf15HIP_vector_typeIjLj3EEmmmmmmii.numbered_sgpr, 74
	.set _ZL18solve_tri_f32_fastILi64ELi2EEvPKfS1_Pf15HIP_vector_typeIjLj3EEmmmmmmii.num_named_barrier, 0
	.set _ZL18solve_tri_f32_fastILi64ELi2EEvPKfS1_Pf15HIP_vector_typeIjLj3EEmmmmmmii.private_seg_size, 0
	.set _ZL18solve_tri_f32_fastILi64ELi2EEvPKfS1_Pf15HIP_vector_typeIjLj3EEmmmmmmii.uses_vcc, 1
	.set _ZL18solve_tri_f32_fastILi64ELi2EEvPKfS1_Pf15HIP_vector_typeIjLj3EEmmmmmmii.uses_flat_scratch, 0
	.set _ZL18solve_tri_f32_fastILi64ELi2EEvPKfS1_Pf15HIP_vector_typeIjLj3EEmmmmmmii.has_dyn_sized_stack, 0
	.set _ZL18solve_tri_f32_fastILi64ELi2EEvPKfS1_Pf15HIP_vector_typeIjLj3EEmmmmmmii.has_recursion, 0
	.set _ZL18solve_tri_f32_fastILi64ELi2EEvPKfS1_Pf15HIP_vector_typeIjLj3EEmmmmmmii.has_indirect_call, 0
	.section	.AMDGPU.csdata,"",@progbits
; Kernel info:
; codeLenInByte = 18476
; TotalNumSgprs: 76
; NumVgprs: 17
; ScratchSize: 0
; MemoryBound: 0
; FloatMode: 240
; IeeeMode: 1
; LDSByteSize: 16384 bytes/workgroup (compile time only)
; SGPRBlocks: 0
; VGPRBlocks: 2
; NumSGPRsForWavesPerEU: 76
; NumVGPRsForWavesPerEU: 17
; Occupancy: 16
; WaveLimiterHint : 0
; COMPUTE_PGM_RSRC2:SCRATCH_EN: 0
; COMPUTE_PGM_RSRC2:USER_SGPR: 6
; COMPUTE_PGM_RSRC2:TRAP_HANDLER: 0
; COMPUTE_PGM_RSRC2:TGID_X_EN: 1
; COMPUTE_PGM_RSRC2:TGID_Y_EN: 0
; COMPUTE_PGM_RSRC2:TGID_Z_EN: 0
; COMPUTE_PGM_RSRC2:TIDIG_COMP_CNT: 1
	.section	.text._ZL18solve_tri_f32_fastILi64ELi1EEvPKfS1_Pf15HIP_vector_typeIjLj3EEmmmmmmii,"axG",@progbits,_ZL18solve_tri_f32_fastILi64ELi1EEvPKfS1_Pf15HIP_vector_typeIjLj3EEmmmmmmii,comdat
	.globl	_ZL18solve_tri_f32_fastILi64ELi1EEvPKfS1_Pf15HIP_vector_typeIjLj3EEmmmmmmii ; -- Begin function _ZL18solve_tri_f32_fastILi64ELi1EEvPKfS1_Pf15HIP_vector_typeIjLj3EEmmmmmmii
	.p2align	8
	.type	_ZL18solve_tri_f32_fastILi64ELi1EEvPKfS1_Pf15HIP_vector_typeIjLj3EEmmmmmmii,@function
_ZL18solve_tri_f32_fastILi64ELi1EEvPKfS1_Pf15HIP_vector_typeIjLj3EEmmmmmmii: ; @_ZL18solve_tri_f32_fastILi64ELi1EEvPKfS1_Pf15HIP_vector_typeIjLj3EEmmmmmmii
; %bb.0:
	s_mov_b32 s0, exec_lo
	v_cmpx_eq_u32_e32 0, v1
	s_cbranch_execz .LBB10_320
; %bb.1:
	s_clause 0x2
	s_load_dwordx4 s[0:3], s[4:5], 0x18
	s_load_dwordx8 s[8:15], s[4:5], 0x28
	s_load_dwordx2 s[16:17], s[4:5], 0x0
	v_lshlrev_b32_e32 v1, 2, v0
	v_or_b32_e32 v26, 0x1000, v1
	v_add_nc_u32_e32 v50, 0x400, v1
	v_add_nc_u32_e32 v51, 0x800, v1
	;; [unrolled: 1-line block ×3, first 2 shown]
	v_or_b32_e32 v55, 0x2000, v1
	v_add_nc_u32_e32 v53, 0x1000, v1
	v_add_nc_u32_e32 v54, 0x1400, v1
	v_or_b32_e32 v56, 0x3000, v1
	s_waitcnt lgkmcnt(0)
	s_mul_hi_u32 s0, s0, s6
	s_add_i32 s0, s6, s0
	s_lshr_b32 s67, s0, s1
	s_mul_i32 s0, s67, s2
	s_mul_i32 s3, s11, s67
	s_sub_i32 s72, s6, s0
	s_mul_hi_u32 s6, s10, s67
	s_mul_i32 s1, s9, s72
	s_mul_hi_u32 s2, s8, s72
	s_mul_i32 s0, s8, s72
	s_add_i32 s1, s2, s1
	s_mul_i32 s2, s10, s67
	s_lshl_b64 s[0:1], s[0:1], 2
	s_add_u32 s7, s16, s0
	s_addc_u32 s8, s17, s1
	s_add_i32 s3, s6, s3
	s_lshl_b64 s[0:1], s[2:3], 2
	s_add_u32 s2, s7, s0
	s_addc_u32 s3, s8, s1
	v_add_co_u32 v2, s0, s2, v1
	v_add_co_ci_u32_e64 v3, null, s3, 0, s0
	s_clause 0x1
	global_load_dword v8, v1, s[2:3]
	global_load_dword v9, v1, s[2:3] offset:128
	v_add_co_u32 v4, vcc_lo, 0x800, v2
	v_add_co_ci_u32_e64 v5, null, 0, v3, vcc_lo
	s_clause 0xf
	global_load_dword v10, v1, s[2:3] offset:1024
	global_load_dword v11, v1, s[2:3] offset:1152
	;; [unrolled: 1-line block ×8, first 2 shown]
	global_load_dword v18, v[4:5], off
	global_load_dword v19, v[4:5], off offset:128
	global_load_dword v20, v[4:5], off offset:256
	;; [unrolled: 1-line block ×7, first 2 shown]
	v_add_co_u32 v6, vcc_lo, 0x1000, v2
	s_clause 0x5
	global_load_dword v27, v[4:5], off offset:1024
	global_load_dword v28, v[4:5], off offset:1152
	;; [unrolled: 1-line block ×6, first 2 shown]
	v_add_co_ci_u32_e64 v7, null, 0, v3, vcc_lo
	s_clause 0x11
	global_load_dword v33, v[4:5], off offset:1792
	global_load_dword v34, v[4:5], off offset:1920
	global_load_dword v26, v26, s[2:3]
	global_load_dword v35, v[6:7], off offset:128
	global_load_dword v36, v[6:7], off offset:256
	;; [unrolled: 1-line block ×15, first 2 shown]
	v_add_co_u32 v4, vcc_lo, 0x1800, v2
	v_add_co_ci_u32_e64 v5, null, 0, v3, vcc_lo
	v_add_co_u32 v6, vcc_lo, 0x2000, v2
	s_clause 0x5
	global_load_dword v57, v1, s[2:3] offset:256
	global_load_dword v58, v1, s[2:3] offset:384
	global_load_dword v59, v1, s[2:3] offset:512
	global_load_dword v60, v1, s[2:3] offset:640
	global_load_dword v61, v1, s[2:3] offset:768
	global_load_dword v62, v1, s[2:3] offset:896
	v_add_co_ci_u32_e64 v7, null, 0, v3, vcc_lo
	s_waitcnt vmcnt(46)
	ds_write2_b32 v1, v8, v9 offset1:32
	v_add_co_u32 v8, vcc_lo, 0x2800, v2
	s_waitcnt vmcnt(44)
	ds_write2_b32 v50, v10, v11 offset1:32
	v_add_co_ci_u32_e64 v9, null, 0, v3, vcc_lo
	s_waitcnt vmcnt(42)
	ds_write2_b32 v50, v12, v13 offset0:64 offset1:96
	s_waitcnt vmcnt(40)
	ds_write2_b32 v50, v14, v15 offset0:128 offset1:160
	;; [unrolled: 2-line block ×3, first 2 shown]
	s_waitcnt vmcnt(36)
	ds_write2_b32 v51, v18, v19 offset1:32
	s_clause 0x7
	global_load_dword v10, v[4:5], off
	global_load_dword v11, v[4:5], off offset:128
	global_load_dword v12, v[4:5], off offset:256
	;; [unrolled: 1-line block ×7, first 2 shown]
	s_waitcnt vmcnt(42)
	ds_write2_b32 v51, v20, v21 offset0:64 offset1:96
	s_waitcnt vmcnt(40)
	ds_write2_b32 v51, v22, v23 offset0:128 offset1:160
	;; [unrolled: 2-line block ×3, first 2 shown]
	s_clause 0x7
	global_load_dword v18, v[4:5], off offset:1024
	global_load_dword v19, v[4:5], off offset:1152
	;; [unrolled: 1-line block ×8, first 2 shown]
	s_waitcnt vmcnt(44)
	ds_write2_b32 v52, v27, v28 offset1:32
	s_waitcnt vmcnt(42)
	ds_write2_b32 v52, v29, v30 offset0:64 offset1:96
	s_waitcnt vmcnt(40)
	ds_write2_b32 v52, v31, v32 offset0:128 offset1:160
	s_clause 0x7
	global_load_dword v5, v55, s[2:3]
	global_load_dword v25, v[6:7], off offset:128
	global_load_dword v27, v[6:7], off offset:256
	;; [unrolled: 1-line block ×7, first 2 shown]
	s_waitcnt vmcnt(46)
	ds_write2_b32 v52, v33, v34 offset0:192 offset1:224
	s_waitcnt vmcnt(44)
	ds_write2_b32 v53, v26, v35 offset1:32
	s_waitcnt vmcnt(42)
	ds_write2_b32 v53, v36, v37 offset0:64 offset1:96
	s_clause 0x7
	global_load_dword v26, v[6:7], off offset:1024
	global_load_dword v33, v[6:7], off offset:1152
	;; [unrolled: 1-line block ×8, first 2 shown]
	s_waitcnt vmcnt(48)
	ds_write2_b32 v53, v38, v39 offset0:128 offset1:160
	s_waitcnt vmcnt(46)
	ds_write2_b32 v53, v40, v41 offset0:192 offset1:224
	s_waitcnt vmcnt(44)
	ds_write2_b32 v54, v42, v43 offset1:32
	s_clause 0x7
	global_load_dword v7, v[8:9], off
	global_load_dword v38, v[8:9], off offset:128
	global_load_dword v39, v[8:9], off offset:256
	;; [unrolled: 1-line block ×7, first 2 shown]
	s_waitcnt vmcnt(50)
	ds_write2_b32 v54, v44, v45 offset0:64 offset1:96
	s_waitcnt vmcnt(48)
	ds_write2_b32 v54, v46, v47 offset0:128 offset1:160
	;; [unrolled: 2-line block ×3, first 2 shown]
	s_clause 0x8
	global_load_dword v44, v[8:9], off offset:1024
	global_load_dword v45, v[8:9], off offset:1152
	;; [unrolled: 1-line block ×8, first 2 shown]
	global_load_dword v9, v56, s[2:3]
	v_cmp_gt_u32_e32 vcc_lo, 0x3e0, v0
	v_add_nc_u32_e32 v53, 0x1800, v1
	v_add_nc_u32_e32 v54, 0x1c00, v1
	s_waitcnt vmcnt(53)
	ds_write2_b32 v1, v57, v58 offset0:64 offset1:96
	v_add_nc_u32_e32 v55, 0x2000, v1
	s_waitcnt vmcnt(51)
	ds_write2_b32 v1, v59, v60 offset0:128 offset1:160
	v_add_nc_u32_e32 v56, 0x2400, v1
	v_add_nc_u32_e32 v57, 0x2800, v1
	s_waitcnt vmcnt(49)
	ds_write2_b32 v1, v61, v62 offset0:192 offset1:224
	v_add_nc_u32_e32 v58, 0x2c00, v1
	s_waitcnt vmcnt(47)
	ds_write2_b32 v53, v10, v11 offset1:32
	s_waitcnt vmcnt(45)
	ds_write2_b32 v53, v12, v13 offset0:64 offset1:96
	s_waitcnt vmcnt(43)
	ds_write2_b32 v53, v14, v15 offset0:128 offset1:160
	s_waitcnt vmcnt(41)
	ds_write2_b32 v53, v16, v17 offset0:192 offset1:224
	s_waitcnt vmcnt(39)
	ds_write2_b32 v54, v18, v19 offset1:32
	s_waitcnt vmcnt(37)
	ds_write2_b32 v54, v20, v21 offset0:64 offset1:96
	s_waitcnt vmcnt(35)
	ds_write2_b32 v54, v22, v23 offset0:128 offset1:160
	s_waitcnt vmcnt(33)
	ds_write2_b32 v54, v24, v4 offset0:192 offset1:224
	;; [unrolled: 8-line block ×6, first 2 shown]
	s_waitcnt vmcnt(0)
	ds_write_b32 v1, v9 offset:12288
	s_and_saveexec_b32 s0, vcc_lo
	s_cbranch_execz .LBB10_3
; %bb.2:
	v_add_co_u32 v4, vcc_lo, 0x3000, v2
	v_add_co_ci_u32_e64 v5, null, 0, v3, vcc_lo
	global_load_dword v4, v[4:5], off offset:128
	s_waitcnt vmcnt(0)
	ds_write_b32 v1, v4 offset:12416
.LBB10_3:
	s_or_b32 exec_lo, exec_lo, s0
	s_mov_b32 s0, exec_lo
	v_cmpx_gt_u32_e32 0x3c0, v0
	s_cbranch_execz .LBB10_5
; %bb.4:
	v_add_co_u32 v4, vcc_lo, 0x3000, v2
	v_add_co_ci_u32_e64 v5, null, 0, v3, vcc_lo
	global_load_dword v4, v[4:5], off offset:256
	s_waitcnt vmcnt(0)
	ds_write_b32 v1, v4 offset:12544
.LBB10_5:
	s_or_b32 exec_lo, exec_lo, s0
	s_mov_b32 s0, exec_lo
	v_cmpx_gt_u32_e32 0x3a0, v0
	;; [unrolled: 11-line block ×15, first 2 shown]
	s_cbranch_execz .LBB10_33
; %bb.32:
	v_lshl_or_b32 v4, v0, 2, 0x3800
	global_load_dword v4, v4, s[2:3]
	s_waitcnt vmcnt(0)
	ds_write_b32 v1, v4 offset:14336
.LBB10_33:
	s_or_b32 exec_lo, exec_lo, s0
	s_mov_b32 s0, exec_lo
	v_cmpx_gt_u32_e32 0x1e0, v0
	s_cbranch_execz .LBB10_35
; %bb.34:
	v_add_co_u32 v4, vcc_lo, 0x3800, v2
	v_add_co_ci_u32_e64 v5, null, 0, v3, vcc_lo
	global_load_dword v4, v[4:5], off offset:128
	s_waitcnt vmcnt(0)
	ds_write_b32 v1, v4 offset:14464
.LBB10_35:
	s_or_b32 exec_lo, exec_lo, s0
	s_mov_b32 s0, exec_lo
	v_cmpx_gt_u32_e32 0x1c0, v0
	s_cbranch_execz .LBB10_37
; %bb.36:
	v_add_co_u32 v4, vcc_lo, 0x3800, v2
	v_add_co_ci_u32_e64 v5, null, 0, v3, vcc_lo
	global_load_dword v4, v[4:5], off offset:256
	s_waitcnt vmcnt(0)
	ds_write_b32 v1, v4 offset:14592
.LBB10_37:
	;; [unrolled: 11-line block ×7, first 2 shown]
	s_or_b32 exec_lo, exec_lo, s0
	s_mov_b32 s0, exec_lo
	v_cmpx_gt_u32_e32 0x100, v0
	s_cbranch_execz .LBB10_49
; %bb.48:
	v_lshl_or_b32 v4, v0, 2, 0x3c00
	global_load_dword v4, v4, s[2:3]
	s_waitcnt vmcnt(0)
	ds_write_b32 v1, v4 offset:15360
.LBB10_49:
	s_or_b32 exec_lo, exec_lo, s0
	s_mov_b32 s0, exec_lo
	v_cmpx_gt_u32_e32 0xe0, v0
	s_cbranch_execz .LBB10_51
; %bb.50:
	v_add_co_u32 v4, vcc_lo, 0x3800, v2
	v_add_co_ci_u32_e64 v5, null, 0, v3, vcc_lo
	global_load_dword v4, v[4:5], off offset:1152
	s_waitcnt vmcnt(0)
	ds_write_b32 v1, v4 offset:15488
.LBB10_51:
	s_or_b32 exec_lo, exec_lo, s0
	s_mov_b32 s0, exec_lo
	v_cmpx_gt_u32_e32 0xc0, v0
	s_cbranch_execz .LBB10_53
; %bb.52:
	v_add_co_u32 v4, vcc_lo, 0x3800, v2
	v_add_co_ci_u32_e64 v5, null, 0, v3, vcc_lo
	global_load_dword v4, v[4:5], off offset:1280
	s_waitcnt vmcnt(0)
	ds_write_b32 v1, v4 offset:15616
.LBB10_53:
	;; [unrolled: 11-line block ×3, first 2 shown]
	s_or_b32 exec_lo, exec_lo, s0
	s_mov_b32 s0, exec_lo
	v_cmpx_gt_u32_e32 0x80, v0
	s_cbranch_execz .LBB10_57
; %bb.56:
	v_lshl_or_b32 v4, v0, 2, 0x3e00
	global_load_dword v4, v4, s[2:3]
	s_waitcnt vmcnt(0)
	ds_write_b32 v1, v4 offset:15872
.LBB10_57:
	s_or_b32 exec_lo, exec_lo, s0
	s_load_dwordx4 s[68:71], s[4:5], 0x48
	s_mov_b32 s0, exec_lo
	v_cmpx_gt_u32_e32 0x60, v0
	s_cbranch_execz .LBB10_59
; %bb.58:
	v_add_co_u32 v2, vcc_lo, 0x3800, v2
	v_add_co_ci_u32_e64 v3, null, 0, v3, vcc_lo
	global_load_dword v2, v[2:3], off offset:1664
	s_waitcnt vmcnt(0)
	ds_write_b32 v1, v2 offset:16000
.LBB10_59:
	s_or_b32 exec_lo, exec_lo, s0
	s_load_dwordx2 s[6:7], s[4:5], 0x8
	v_cmp_gt_u32_e64 s0, 64, v0
	s_and_saveexec_b32 s1, s0
	s_cbranch_execz .LBB10_61
; %bb.60:
	v_lshl_or_b32 v2, v0, 2, 0x3f00
	global_load_dword v2, v2, s[2:3]
	s_waitcnt vmcnt(0)
	ds_write_b32 v1, v2 offset:16128
.LBB10_61:
	s_or_b32 exec_lo, exec_lo, s1
	v_cmp_gt_u32_e64 s1, 32, v0
	s_and_saveexec_b32 s8, s1
	s_cbranch_execz .LBB10_63
; %bb.62:
	v_lshl_or_b32 v2, v0, 2, 0x3f80
	global_load_dword v2, v2, s[2:3]
	s_waitcnt vmcnt(0)
	ds_write_b32 v1, v2 offset:16256
.LBB10_63:
	s_or_b32 exec_lo, exec_lo, s8
	s_mul_i32 s2, s13, s72
	s_mul_hi_u32 s3, s12, s72
	s_mul_i32 s8, s15, s67
	s_add_i32 s3, s3, s2
	s_mul_i32 s2, s12, s72
	s_mul_hi_u32 s9, s14, s67
	s_lshl_b64 s[2:3], s[2:3], 2
	s_add_i32 s9, s9, s8
	s_mul_i32 s8, s14, s67
	s_waitcnt lgkmcnt(0)
	s_add_u32 s6, s6, s2
	s_addc_u32 s7, s7, s3
	s_lshl_b64 s[2:3], s[8:9], 2
	v_mov_b32_e32 v8, 0
	v_mov_b32_e32 v7, 0
	s_add_u32 s2, s6, s2
	s_addc_u32 s3, s7, s3
	s_barrier
	buffer_gl0_inv
	s_and_saveexec_b32 s6, s0
	s_cbranch_execnz .LBB10_321
; %bb.64:
	s_or_b32 exec_lo, exec_lo, s6
	s_and_saveexec_b32 s6, s1
	s_cbranch_execnz .LBB10_322
.LBB10_65:
	s_or_b32 exec_lo, exec_lo, s6
	v_cmp_eq_u32_e64 s2, 0, v0
	s_and_saveexec_b32 s3, s2
	s_cbranch_execnz .LBB10_323
.LBB10_66:
	s_or_b32 exec_lo, exec_lo, s3
	v_mov_b32_e32 v4, 0
	s_and_saveexec_b32 s3, s2
	s_cbranch_execz .LBB10_68
.LBB10_67:
	ds_read_b32 v2, v1 offset:256
	s_waitcnt vmcnt(0) lgkmcnt(0)
	v_fma_f32 v4, v7, v2, 0
.LBB10_68:
	s_or_b32 exec_lo, exec_lo, s3
	v_mbcnt_lo_u32_b32 v6, -1, 0
	v_cmp_eq_u32_e64 s37, 1, v0
	v_xor_b32_e32 v2, 16, v6
	v_xor_b32_e32 v3, 8, v6
	;; [unrolled: 1-line block ×3, first 2 shown]
	v_cmp_gt_i32_e32 vcc_lo, 32, v2
	v_cndmask_b32_e32 v2, v6, v2, vcc_lo
	v_cmp_gt_i32_e32 vcc_lo, 32, v3
	v_lshlrev_b32_e32 v2, 2, v2
	v_cndmask_b32_e32 v3, v6, v3, vcc_lo
	ds_bpermute_b32 v5, v2, v4
	v_lshlrev_b32_e32 v3, 2, v3
	s_waitcnt lgkmcnt(0)
	v_add_f32_e32 v5, v4, v5
	v_xor_b32_e32 v4, 4, v6
	ds_bpermute_b32 v9, v3, v5
	v_cmp_gt_i32_e32 vcc_lo, 32, v4
	v_cndmask_b32_e32 v4, v6, v4, vcc_lo
	v_lshlrev_b32_e32 v4, 2, v4
	s_waitcnt lgkmcnt(0)
	v_add_f32_e32 v9, v5, v9
	v_xor_b32_e32 v5, 2, v6
	ds_bpermute_b32 v10, v4, v9
	v_cmp_gt_i32_e32 vcc_lo, 32, v5
	v_cndmask_b32_e32 v5, v6, v5, vcc_lo
	v_cmp_gt_i32_e32 vcc_lo, 32, v11
	v_lshlrev_b32_e32 v5, 2, v5
	v_cndmask_b32_e32 v6, v6, v11, vcc_lo
	v_lshlrev_b32_e32 v6, 2, v6
	s_waitcnt lgkmcnt(0)
	v_add_f32_e32 v9, v9, v10
	ds_bpermute_b32 v10, v5, v9
	s_waitcnt lgkmcnt(0)
	v_add_f32_e32 v9, v9, v10
	ds_bpermute_b32 v10, v6, v9
	s_and_saveexec_b32 s3, s37
	s_cbranch_execz .LBB10_70
; %bb.69:
	v_mov_b32_e32 v11, 0
	s_waitcnt lgkmcnt(0)
	v_add_f32_e32 v9, v9, v10
	ds_read_b32 v11, v11 offset:260
	s_waitcnt vmcnt(0)
	v_sub_f32_e32 v7, v7, v9
	s_waitcnt lgkmcnt(0)
	v_div_scale_f32 v9, null, v11, v11, v7
	v_rcp_f32_e32 v10, v9
	v_fma_f32 v12, -v9, v10, 1.0
	v_fmac_f32_e32 v10, v12, v10
	v_div_scale_f32 v12, vcc_lo, v7, v11, v7
	v_mul_f32_e32 v13, v12, v10
	v_fma_f32 v14, -v9, v13, v12
	v_fmac_f32_e32 v13, v14, v10
	v_fma_f32 v9, -v9, v13, v12
	v_div_fmas_f32 v9, v9, v10, v13
	v_div_fixup_f32 v7, v9, v11, v7
.LBB10_70:
	s_or_b32 exec_lo, exec_lo, s3
	v_cmp_gt_u32_e64 s7, 2, v0
	v_mov_b32_e32 v9, 0
	s_and_saveexec_b32 s3, s7
	s_cbranch_execz .LBB10_72
; %bb.71:
	ds_read_b32 v9, v1 offset:512
	s_waitcnt vmcnt(0) lgkmcnt(0)
	v_fma_f32 v9, v7, v9, 0
.LBB10_72:
	s_or_b32 exec_lo, exec_lo, s3
	s_waitcnt lgkmcnt(0)
	ds_bpermute_b32 v10, v2, v9
	v_cmp_eq_u32_e64 s38, 2, v0
	s_waitcnt lgkmcnt(0)
	v_add_f32_e32 v9, v9, v10
	ds_bpermute_b32 v10, v3, v9
	s_waitcnt lgkmcnt(0)
	v_add_f32_e32 v9, v9, v10
	ds_bpermute_b32 v10, v4, v9
	s_waitcnt lgkmcnt(0)
	v_add_f32_e32 v9, v9, v10
	ds_bpermute_b32 v10, v5, v9
	s_waitcnt lgkmcnt(0)
	v_add_f32_e32 v9, v9, v10
	ds_bpermute_b32 v10, v6, v9
	s_and_saveexec_b32 s3, s38
	s_cbranch_execz .LBB10_74
; %bb.73:
	v_mov_b32_e32 v11, 0
	s_waitcnt lgkmcnt(0)
	v_add_f32_e32 v9, v9, v10
	ds_read_b32 v11, v11 offset:520
	s_waitcnt vmcnt(0)
	v_sub_f32_e32 v7, v7, v9
	s_waitcnt lgkmcnt(0)
	v_div_scale_f32 v9, null, v11, v11, v7
	v_rcp_f32_e32 v10, v9
	v_fma_f32 v12, -v9, v10, 1.0
	v_fmac_f32_e32 v10, v12, v10
	v_div_scale_f32 v12, vcc_lo, v7, v11, v7
	v_mul_f32_e32 v13, v12, v10
	v_fma_f32 v14, -v9, v13, v12
	v_fmac_f32_e32 v13, v14, v10
	v_fma_f32 v9, -v9, v13, v12
	v_div_fmas_f32 v9, v9, v10, v13
	v_div_fixup_f32 v7, v9, v11, v7
.LBB10_74:
	s_or_b32 exec_lo, exec_lo, s3
	v_cmp_gt_u32_e64 s8, 3, v0
	v_mov_b32_e32 v9, 0
	s_and_saveexec_b32 s3, s8
	s_cbranch_execz .LBB10_76
; %bb.75:
	ds_read_b32 v9, v1 offset:768
	s_waitcnt vmcnt(0) lgkmcnt(0)
	v_fma_f32 v9, v7, v9, 0
.LBB10_76:
	s_or_b32 exec_lo, exec_lo, s3
	s_waitcnt lgkmcnt(0)
	ds_bpermute_b32 v10, v2, v9
	v_cmp_eq_u32_e64 s39, 3, v0
	s_waitcnt lgkmcnt(0)
	v_add_f32_e32 v9, v9, v10
	ds_bpermute_b32 v10, v3, v9
	s_waitcnt lgkmcnt(0)
	v_add_f32_e32 v9, v9, v10
	ds_bpermute_b32 v10, v4, v9
	;; [unrolled: 48-line block ×30, first 2 shown]
	s_waitcnt lgkmcnt(0)
	v_add_f32_e32 v9, v9, v10
	ds_bpermute_b32 v10, v5, v9
	s_waitcnt lgkmcnt(0)
	v_add_f32_e32 v9, v9, v10
	ds_bpermute_b32 v10, v6, v9
	s_and_saveexec_b32 s73, s6
	s_cbranch_execz .LBB10_190
; %bb.189:
	v_mov_b32_e32 v0, 0
	s_waitcnt lgkmcnt(0)
	v_add_f32_e32 v9, v9, v10
	ds_read_b32 v0, v0 offset:8060
	s_waitcnt vmcnt(0)
	v_sub_f32_e32 v7, v7, v9
	s_waitcnt lgkmcnt(0)
	v_div_scale_f32 v9, null, v0, v0, v7
	v_rcp_f32_e32 v10, v9
	v_fma_f32 v11, -v9, v10, 1.0
	v_fmac_f32_e32 v10, v11, v10
	v_div_scale_f32 v11, vcc_lo, v7, v0, v7
	v_mul_f32_e32 v12, v11, v10
	v_fma_f32 v13, -v9, v12, v11
	v_fmac_f32_e32 v12, v13, v10
	v_fma_f32 v9, -v9, v12, v11
	v_div_fmas_f32 v9, v9, v10, v12
	v_div_fixup_f32 v7, v9, v0, v7
.LBB10_190:
	s_or_b32 exec_lo, exec_lo, s73
	ds_read_b32 v0, v1 offset:8192
	s_waitcnt vmcnt(0) lgkmcnt(0)
	v_mul_f32_e32 v9, v7, v0
	ds_bpermute_b32 v9, v2, v9
	s_waitcnt lgkmcnt(0)
	v_fmac_f32_e32 v9, v7, v0
	ds_bpermute_b32 v0, v3, v9
	s_waitcnt lgkmcnt(0)
	v_add_f32_e32 v0, v9, v0
	ds_bpermute_b32 v9, v4, v0
	s_waitcnt lgkmcnt(0)
	v_add_f32_e32 v0, v0, v9
	ds_bpermute_b32 v9, v5, v0
	s_waitcnt lgkmcnt(0)
	v_add_f32_e32 v0, v0, v9
	ds_bpermute_b32 v9, v6, v0
	s_and_saveexec_b32 s73, s2
	s_cbranch_execz .LBB10_192
; %bb.191:
	v_mov_b32_e32 v10, 0
	s_waitcnt lgkmcnt(0)
	v_add_f32_e32 v0, v0, v9
	ds_read_b32 v10, v10 offset:8320
	v_sub_f32_e32 v0, v8, v0
	s_waitcnt lgkmcnt(0)
	v_div_scale_f32 v8, null, v10, v10, v0
	v_rcp_f32_e32 v9, v8
	v_fma_f32 v11, -v8, v9, 1.0
	v_fmac_f32_e32 v9, v11, v9
	v_div_scale_f32 v11, vcc_lo, v0, v10, v0
	v_mul_f32_e32 v12, v11, v9
	v_fma_f32 v13, -v8, v12, v11
	v_fmac_f32_e32 v12, v13, v9
	v_fma_f32 v8, -v8, v12, v11
	v_div_fmas_f32 v8, v8, v9, v12
	v_div_fixup_f32 v8, v8, v10, v0
.LBB10_192:
	s_or_b32 exec_lo, exec_lo, s73
	ds_read_b32 v0, v1 offset:8448
	s_waitcnt lgkmcnt(0)
	v_mul_f32_e32 v0, v7, v0
	s_and_saveexec_b32 s73, s2
	s_cbranch_execz .LBB10_194
; %bb.193:
	ds_read_b32 v9, v1 offset:8576
	s_waitcnt lgkmcnt(0)
	v_fmac_f32_e32 v0, v8, v9
.LBB10_194:
	s_or_b32 exec_lo, exec_lo, s73
	ds_bpermute_b32 v9, v2, v0
	s_waitcnt lgkmcnt(0)
	v_add_f32_e32 v0, v0, v9
	ds_bpermute_b32 v9, v3, v0
	s_waitcnt lgkmcnt(0)
	v_add_f32_e32 v0, v0, v9
	ds_bpermute_b32 v9, v4, v0
	s_waitcnt lgkmcnt(0)
	v_add_f32_e32 v0, v0, v9
	ds_bpermute_b32 v9, v5, v0
	s_waitcnt lgkmcnt(0)
	v_add_f32_e32 v0, v0, v9
	ds_bpermute_b32 v9, v6, v0
	s_and_saveexec_b32 s2, s37
	s_cbranch_execz .LBB10_196
; %bb.195:
	v_mov_b32_e32 v10, 0
	s_waitcnt lgkmcnt(0)
	v_add_f32_e32 v0, v0, v9
	ds_read_b32 v10, v10 offset:8580
	v_sub_f32_e32 v0, v8, v0
	s_waitcnt lgkmcnt(0)
	v_div_scale_f32 v8, null, v10, v10, v0
	v_rcp_f32_e32 v9, v8
	v_fma_f32 v11, -v8, v9, 1.0
	v_fmac_f32_e32 v9, v11, v9
	v_div_scale_f32 v11, vcc_lo, v0, v10, v0
	v_mul_f32_e32 v12, v11, v9
	v_fma_f32 v13, -v8, v12, v11
	v_fmac_f32_e32 v12, v13, v9
	v_fma_f32 v8, -v8, v12, v11
	v_div_fmas_f32 v8, v8, v9, v12
	v_div_fixup_f32 v8, v8, v10, v0
.LBB10_196:
	s_or_b32 exec_lo, exec_lo, s2
	ds_read_b32 v0, v1 offset:8704
	s_waitcnt lgkmcnt(0)
	v_mul_f32_e32 v0, v7, v0
	s_and_saveexec_b32 s2, s7
	s_cbranch_execz .LBB10_198
; %bb.197:
	ds_read_b32 v9, v1 offset:8832
	s_waitcnt lgkmcnt(0)
	v_fmac_f32_e32 v0, v8, v9
.LBB10_198:
	s_or_b32 exec_lo, exec_lo, s2
	ds_bpermute_b32 v9, v2, v0
	s_waitcnt lgkmcnt(0)
	v_add_f32_e32 v0, v0, v9
	;; [unrolled: 46-line block ×30, first 2 shown]
	ds_bpermute_b32 v9, v3, v0
	s_waitcnt lgkmcnt(0)
	v_add_f32_e32 v0, v0, v9
	ds_bpermute_b32 v9, v4, v0
	s_waitcnt lgkmcnt(0)
	v_add_f32_e32 v0, v0, v9
	;; [unrolled: 3-line block ×3, first 2 shown]
	ds_bpermute_b32 v9, v6, v0
	s_and_saveexec_b32 s2, s66
	s_cbranch_execz .LBB10_312
; %bb.311:
	v_mov_b32_e32 v10, 0
	s_waitcnt lgkmcnt(0)
	v_add_f32_e32 v0, v0, v9
	ds_read_b32 v10, v10 offset:16120
	v_sub_f32_e32 v0, v8, v0
	s_waitcnt lgkmcnt(0)
	v_div_scale_f32 v8, null, v10, v10, v0
	v_rcp_f32_e32 v9, v8
	v_fma_f32 v11, -v8, v9, 1.0
	v_fmac_f32_e32 v9, v11, v9
	v_div_scale_f32 v11, vcc_lo, v0, v10, v0
	v_mul_f32_e32 v12, v11, v9
	v_fma_f32 v13, -v8, v12, v11
	v_fmac_f32_e32 v12, v13, v9
	v_fma_f32 v8, -v8, v12, v11
	v_div_fmas_f32 v8, v8, v9, v12
	v_div_fixup_f32 v8, v8, v10, v0
.LBB10_312:
	s_or_b32 exec_lo, exec_lo, s2
	ds_read_b32 v0, v1 offset:16128
	s_load_dwordx2 s[4:5], s[4:5], 0x10
	s_waitcnt lgkmcnt(0)
	v_mul_f32_e32 v0, v7, v0
	s_and_saveexec_b32 s2, s3
	s_cbranch_execz .LBB10_314
; %bb.313:
	ds_read_b32 v9, v1 offset:16256
	s_waitcnt lgkmcnt(0)
	v_fmac_f32_e32 v0, v8, v9
.LBB10_314:
	s_or_b32 exec_lo, exec_lo, s2
	ds_bpermute_b32 v2, v2, v0
	s_waitcnt lgkmcnt(0)
	v_add_f32_e32 v0, v0, v2
	ds_bpermute_b32 v2, v3, v0
	s_waitcnt lgkmcnt(0)
	v_add_f32_e32 v0, v0, v2
	;; [unrolled: 3-line block ×4, first 2 shown]
	ds_bpermute_b32 v2, v6, v0
	s_and_saveexec_b32 s2, s6
	s_cbranch_execz .LBB10_316
; %bb.315:
	v_mov_b32_e32 v3, 0
	s_waitcnt lgkmcnt(0)
	v_add_f32_e32 v0, v0, v2
	ds_read_b32 v3, v3 offset:16380
	v_sub_f32_e32 v0, v8, v0
	s_waitcnt lgkmcnt(0)
	v_div_scale_f32 v2, null, v3, v3, v0
	v_rcp_f32_e32 v4, v2
	v_fma_f32 v5, -v2, v4, 1.0
	v_fmac_f32_e32 v4, v5, v4
	v_div_scale_f32 v5, vcc_lo, v0, v3, v0
	v_mul_f32_e32 v6, v5, v4
	v_fma_f32 v8, -v2, v6, v5
	v_fmac_f32_e32 v6, v8, v4
	v_fma_f32 v2, -v2, v6, v5
	v_div_fmas_f32 v2, v2, v4, v6
	v_div_fixup_f32 v8, v2, v3, v0
.LBB10_316:
	s_or_b32 exec_lo, exec_lo, s2
	s_mul_i32 s2, s69, s72
	s_mul_hi_u32 s3, s68, s72
	s_mul_i32 s6, s71, s67
	s_add_i32 s3, s3, s2
	s_mul_i32 s2, s68, s72
	s_mul_hi_u32 s7, s70, s67
	s_lshl_b64 s[2:3], s[2:3], 2
	s_add_i32 s7, s7, s6
	s_mul_i32 s6, s70, s67
	s_add_u32 s4, s4, s2
	s_addc_u32 s5, s5, s3
	s_lshl_b64 s[2:3], s[6:7], 2
	s_add_u32 s2, s4, s2
	s_addc_u32 s3, s5, s3
	s_and_saveexec_b32 s4, s0
	s_cbranch_execz .LBB10_318
; %bb.317:
	v_cndmask_b32_e64 v0, v8, v7, s1
	global_store_dword v1, v0, s[2:3]
.LBB10_318:
	s_or_b32 exec_lo, exec_lo, s4
	s_and_b32 exec_lo, exec_lo, s1
	s_cbranch_execz .LBB10_320
; %bb.319:
	global_store_dword v1, v8, s[2:3] offset:128
.LBB10_320:
	s_endpgm
.LBB10_321:
	global_load_dword v7, v1, s[2:3]
	s_or_b32 exec_lo, exec_lo, s6
	s_and_saveexec_b32 s6, s1
	s_cbranch_execz .LBB10_65
.LBB10_322:
	global_load_dword v8, v1, s[2:3] offset:128
	s_or_b32 exec_lo, exec_lo, s6
	v_cmp_eq_u32_e64 s2, 0, v0
	s_and_saveexec_b32 s3, s2
	s_cbranch_execz .LBB10_66
.LBB10_323:
	v_mov_b32_e32 v2, 0
	ds_read_b32 v2, v2
	s_waitcnt vmcnt(0) lgkmcnt(0)
	v_div_scale_f32 v3, null, v2, v2, v7
	v_rcp_f32_e32 v4, v3
	v_fma_f32 v5, -v3, v4, 1.0
	v_fmac_f32_e32 v4, v5, v4
	v_div_scale_f32 v5, vcc_lo, v7, v2, v7
	v_mul_f32_e32 v6, v5, v4
	v_fma_f32 v9, -v3, v6, v5
	v_fmac_f32_e32 v6, v9, v4
	v_fma_f32 v3, -v3, v6, v5
	v_div_fmas_f32 v3, v3, v4, v6
	v_div_fixup_f32 v7, v3, v2, v7
	s_or_b32 exec_lo, exec_lo, s3
	v_mov_b32_e32 v4, 0
	s_and_saveexec_b32 s3, s2
	s_cbranch_execnz .LBB10_67
	s_branch .LBB10_68
	.section	.rodata,"a",@progbits
	.p2align	6, 0x0
	.amdhsa_kernel _ZL18solve_tri_f32_fastILi64ELi1EEvPKfS1_Pf15HIP_vector_typeIjLj3EEmmmmmmii
		.amdhsa_group_segment_fixed_size 16384
		.amdhsa_private_segment_fixed_size 0
		.amdhsa_kernarg_size 96
		.amdhsa_user_sgpr_count 6
		.amdhsa_user_sgpr_private_segment_buffer 1
		.amdhsa_user_sgpr_dispatch_ptr 0
		.amdhsa_user_sgpr_queue_ptr 0
		.amdhsa_user_sgpr_kernarg_segment_ptr 1
		.amdhsa_user_sgpr_dispatch_id 0
		.amdhsa_user_sgpr_flat_scratch_init 0
		.amdhsa_user_sgpr_private_segment_size 0
		.amdhsa_wavefront_size32 1
		.amdhsa_uses_dynamic_stack 0
		.amdhsa_system_sgpr_private_segment_wavefront_offset 0
		.amdhsa_system_sgpr_workgroup_id_x 1
		.amdhsa_system_sgpr_workgroup_id_y 0
		.amdhsa_system_sgpr_workgroup_id_z 0
		.amdhsa_system_sgpr_workgroup_info 0
		.amdhsa_system_vgpr_workitem_id 1
		.amdhsa_next_free_vgpr 63
		.amdhsa_next_free_sgpr 74
		.amdhsa_reserve_vcc 1
		.amdhsa_reserve_flat_scratch 0
		.amdhsa_float_round_mode_32 0
		.amdhsa_float_round_mode_16_64 0
		.amdhsa_float_denorm_mode_32 3
		.amdhsa_float_denorm_mode_16_64 3
		.amdhsa_dx10_clamp 1
		.amdhsa_ieee_mode 1
		.amdhsa_fp16_overflow 0
		.amdhsa_workgroup_processor_mode 1
		.amdhsa_memory_ordered 1
		.amdhsa_forward_progress 1
		.amdhsa_shared_vgpr_count 0
		.amdhsa_exception_fp_ieee_invalid_op 0
		.amdhsa_exception_fp_denorm_src 0
		.amdhsa_exception_fp_ieee_div_zero 0
		.amdhsa_exception_fp_ieee_overflow 0
		.amdhsa_exception_fp_ieee_underflow 0
		.amdhsa_exception_fp_ieee_inexact 0
		.amdhsa_exception_int_div_zero 0
	.end_amdhsa_kernel
	.section	.text._ZL18solve_tri_f32_fastILi64ELi1EEvPKfS1_Pf15HIP_vector_typeIjLj3EEmmmmmmii,"axG",@progbits,_ZL18solve_tri_f32_fastILi64ELi1EEvPKfS1_Pf15HIP_vector_typeIjLj3EEmmmmmmii,comdat
.Lfunc_end10:
	.size	_ZL18solve_tri_f32_fastILi64ELi1EEvPKfS1_Pf15HIP_vector_typeIjLj3EEmmmmmmii, .Lfunc_end10-_ZL18solve_tri_f32_fastILi64ELi1EEvPKfS1_Pf15HIP_vector_typeIjLj3EEmmmmmmii
                                        ; -- End function
	.set _ZL18solve_tri_f32_fastILi64ELi1EEvPKfS1_Pf15HIP_vector_typeIjLj3EEmmmmmmii.num_vgpr, 63
	.set _ZL18solve_tri_f32_fastILi64ELi1EEvPKfS1_Pf15HIP_vector_typeIjLj3EEmmmmmmii.num_agpr, 0
	.set _ZL18solve_tri_f32_fastILi64ELi1EEvPKfS1_Pf15HIP_vector_typeIjLj3EEmmmmmmii.numbered_sgpr, 74
	.set _ZL18solve_tri_f32_fastILi64ELi1EEvPKfS1_Pf15HIP_vector_typeIjLj3EEmmmmmmii.num_named_barrier, 0
	.set _ZL18solve_tri_f32_fastILi64ELi1EEvPKfS1_Pf15HIP_vector_typeIjLj3EEmmmmmmii.private_seg_size, 0
	.set _ZL18solve_tri_f32_fastILi64ELi1EEvPKfS1_Pf15HIP_vector_typeIjLj3EEmmmmmmii.uses_vcc, 1
	.set _ZL18solve_tri_f32_fastILi64ELi1EEvPKfS1_Pf15HIP_vector_typeIjLj3EEmmmmmmii.uses_flat_scratch, 0
	.set _ZL18solve_tri_f32_fastILi64ELi1EEvPKfS1_Pf15HIP_vector_typeIjLj3EEmmmmmmii.has_dyn_sized_stack, 0
	.set _ZL18solve_tri_f32_fastILi64ELi1EEvPKfS1_Pf15HIP_vector_typeIjLj3EEmmmmmmii.has_recursion, 0
	.set _ZL18solve_tri_f32_fastILi64ELi1EEvPKfS1_Pf15HIP_vector_typeIjLj3EEmmmmmmii.has_indirect_call, 0
	.section	.AMDGPU.csdata,"",@progbits
; Kernel info:
; codeLenInByte = 18896
; TotalNumSgprs: 76
; NumVgprs: 63
; ScratchSize: 0
; MemoryBound: 0
; FloatMode: 240
; IeeeMode: 1
; LDSByteSize: 16384 bytes/workgroup (compile time only)
; SGPRBlocks: 0
; VGPRBlocks: 7
; NumSGPRsForWavesPerEU: 76
; NumVGPRsForWavesPerEU: 63
; Occupancy: 16
; WaveLimiterHint : 1
; COMPUTE_PGM_RSRC2:SCRATCH_EN: 0
; COMPUTE_PGM_RSRC2:USER_SGPR: 6
; COMPUTE_PGM_RSRC2:TRAP_HANDLER: 0
; COMPUTE_PGM_RSRC2:TGID_X_EN: 1
; COMPUTE_PGM_RSRC2:TGID_Y_EN: 0
; COMPUTE_PGM_RSRC2:TGID_Z_EN: 0
; COMPUTE_PGM_RSRC2:TIDIG_COMP_CNT: 1
	.section	.text._ZL18solve_tri_f32_fastILi0ELi0EEvPKfS1_Pf15HIP_vector_typeIjLj3EEmmmmmmii,"axG",@progbits,_ZL18solve_tri_f32_fastILi0ELi0EEvPKfS1_Pf15HIP_vector_typeIjLj3EEmmmmmmii,comdat
	.globl	_ZL18solve_tri_f32_fastILi0ELi0EEvPKfS1_Pf15HIP_vector_typeIjLj3EEmmmmmmii ; -- Begin function _ZL18solve_tri_f32_fastILi0ELi0EEvPKfS1_Pf15HIP_vector_typeIjLj3EEmmmmmmii
	.p2align	8
	.type	_ZL18solve_tri_f32_fastILi0ELi0EEvPKfS1_Pf15HIP_vector_typeIjLj3EEmmmmmmii,@function
_ZL18solve_tri_f32_fastILi0ELi0EEvPKfS1_Pf15HIP_vector_typeIjLj3EEmmmmmmii: ; @_ZL18solve_tri_f32_fastILi0ELi0EEvPKfS1_Pf15HIP_vector_typeIjLj3EEmmmmmmii
; %bb.0:
	s_load_dwordx2 s[2:3], s[4:5], 0x58
	s_mov_b32 s0, exec_lo
	s_waitcnt lgkmcnt(0)
	v_cmpx_gt_i32_e64 s3, v1
	s_cbranch_execz .LBB11_28
; %bb.1:
	s_clause 0x3
	s_load_dwordx4 s[20:23], s[4:5], 0x18
	s_load_dwordx2 s[0:1], s[4:5], 0x8
	s_load_dwordx8 s[8:15], s[4:5], 0x28
	s_load_dwordx4 s[16:19], s[4:5], 0x48
	s_waitcnt lgkmcnt(0)
	s_mul_hi_u32 s7, s20, s6
	s_add_i32 s7, s6, s7
	s_lshr_b32 s7, s7, s21
	s_mul_i32 s20, s7, s22
	s_sub_i32 s6, s6, s20
	s_cmp_eq_u32 s2, 0
	s_mov_b32 s20, 0
	s_cbranch_scc1 .LBB11_6
; %bb.2:
	s_clause 0x1
	s_load_dwordx2 s[22:23], s[4:5], 0x0
	s_load_dword s21, s[4:5], 0x6c
	s_mul_i32 s9, s9, s6
	s_mul_hi_u32 s24, s8, s6
	s_mul_i32 s8, s8, s6
	s_add_i32 s9, s24, s9
	s_mul_i32 s11, s11, s7
	s_lshl_b64 s[8:9], s[8:9], 2
	s_mul_hi_u32 s24, s10, s7
	s_mul_i32 s10, s10, s7
	v_mov_b32_e32 v3, 0
	s_waitcnt lgkmcnt(0)
	s_add_u32 s22, s22, s8
	s_addc_u32 s23, s23, s9
	s_add_i32 s11, s24, s11
	s_lshl_b64 s[8:9], s[10:11], 2
	s_add_u32 s8, s22, s8
	s_addc_u32 s9, s23, s9
	s_and_b32 s10, s21, 0xffff
	s_lshl_b32 s11, s3, 5
	v_mad_u32_u24 v4, v1, s10, v0
	s_mul_i32 s10, s2, s2
	s_lshl_b32 s21, s3, 7
	v_lshlrev_b32_e32 v5, 2, v4
	s_branch .LBB11_4
	.p2align	6
.LBB11_3:                               ;   in Loop: Header=BB11_4 Depth=1
	s_or_b32 exec_lo, exec_lo, s22
	v_add_nc_u32_e32 v5, s21, v5
	s_add_i32 s20, s20, s11
	s_cmp_ge_i32 s20, s10
	s_cbranch_scc1 .LBB11_6
.LBB11_4:                               ; =>This Inner Loop Header: Depth=1
	v_add_nc_u32_e32 v2, s20, v4
	s_mov_b32 s22, exec_lo
	v_cmpx_gt_i32_e64 s10, v2
	s_cbranch_execz .LBB11_3
; %bb.5:                                ;   in Loop: Header=BB11_4 Depth=1
	v_lshlrev_b64 v[6:7], 2, v[2:3]
	v_add_co_u32 v6, vcc_lo, s8, v6
	v_add_co_ci_u32_e64 v7, null, s9, v7, vcc_lo
	global_load_dword v2, v[6:7], off
	s_waitcnt vmcnt(0)
	ds_write_b32 v5, v2
	s_branch .LBB11_3
.LBB11_6:
	s_mul_i32 s9, s13, s6
	s_mul_hi_u32 s10, s12, s6
	s_mul_i32 s8, s12, s6
	s_add_i32 s9, s10, s9
	s_mul_i32 s10, s15, s7
	s_lshl_b64 s[8:9], s[8:9], 2
	v_mov_b32_e32 v2, 0
	s_add_u32 s8, s0, s8
	s_mul_hi_u32 s0, s14, s7
	s_addc_u32 s9, s1, s9
	s_add_i32 s1, s0, s10
	s_mul_i32 s0, s14, s7
	v_mov_b32_e32 v4, 0
	s_lshl_b64 s[0:1], s[0:1], 2
	s_waitcnt lgkmcnt(0)
	s_add_u32 s8, s8, s0
	v_cmp_gt_i32_e64 s0, s2, v0
	s_addc_u32 s9, s9, s1
	s_barrier
	buffer_gl0_inv
	s_and_saveexec_b32 s1, s0
	s_cbranch_execz .LBB11_8
; %bb.7:
	v_mad_u64_u32 v[3:4], null, s3, v0, v[1:2]
	v_mov_b32_e32 v4, 0
	v_lshlrev_b64 v[3:4], 2, v[3:4]
	v_add_co_u32 v3, vcc_lo, s8, v3
	v_add_co_ci_u32_e64 v4, null, s9, v4, vcc_lo
	global_load_dword v4, v[3:4], off
.LBB11_8:
	s_or_b32 exec_lo, exec_lo, s1
	v_add_nc_u32_e32 v3, 32, v0
	v_cmp_gt_i32_e64 s1, s2, v3
	s_and_saveexec_b32 s10, s1
	s_cbranch_execz .LBB11_10
; %bb.9:
	v_mad_u64_u32 v[5:6], null, s3, v3, v[1:2]
	v_mov_b32_e32 v6, 0
	v_lshlrev_b64 v[5:6], 2, v[5:6]
	v_add_co_u32 v5, vcc_lo, s8, v5
	v_add_co_ci_u32_e64 v6, null, s9, v6, vcc_lo
	global_load_dword v2, v[5:6], off
.LBB11_10:
	s_or_b32 exec_lo, exec_lo, s10
	s_load_dwordx2 s[4:5], s[4:5], 0x10
	v_mbcnt_lo_u32_b32 v5, -1, 0
	s_cmp_lt_i32 s2, 1
	s_cbranch_scc1 .LBB11_17
; %bb.11:
	v_xor_b32_e32 v7, 16, v5
	v_xor_b32_e32 v8, 8, v5
	;; [unrolled: 1-line block ×5, first 2 shown]
	v_cmp_gt_i32_e32 vcc_lo, 32, v7
	v_mul_lo_u32 v12, v0, s2
	v_lshlrev_b32_e32 v6, 2, v0
	s_min_i32 s8, s2, 32
	s_mov_b32 s9, 0
	v_cndmask_b32_e32 v7, v5, v7, vcc_lo
	v_cmp_gt_i32_e32 vcc_lo, 32, v8
	s_lshl_b32 s10, s2, 2
	v_add_lshl_u32 v12, v12, v0, 2
	v_lshlrev_b32_e32 v7, 2, v7
	v_cndmask_b32_e32 v8, v5, v8, vcc_lo
	v_cmp_gt_i32_e32 vcc_lo, 32, v9
	v_lshlrev_b32_e32 v8, 2, v8
	v_cndmask_b32_e32 v9, v5, v9, vcc_lo
	v_cmp_gt_i32_e32 vcc_lo, 32, v10
	;; [unrolled: 3-line block ×3, first 2 shown]
	v_lshlrev_b32_e32 v10, 2, v10
	v_cndmask_b32_e32 v11, v5, v11, vcc_lo
	v_lshlrev_b32_e32 v11, 2, v11
	s_branch .LBB11_13
.LBB11_12:                              ;   in Loop: Header=BB11_13 Depth=1
	s_or_b32 exec_lo, exec_lo, s11
	v_add_nc_u32_e32 v6, s10, v6
	s_add_i32 s9, s9, 1
	s_cmp_eq_u32 s8, s9
	s_cbranch_scc1 .LBB11_17
.LBB11_13:                              ; =>This Inner Loop Header: Depth=1
	v_mov_b32_e32 v13, 0
	s_mov_b32 s11, exec_lo
	v_cmpx_gt_u32_e64 s9, v0
	s_cbranch_execz .LBB11_15
; %bb.14:                               ;   in Loop: Header=BB11_13 Depth=1
	ds_read_b32 v13, v6
	s_waitcnt vmcnt(0) lgkmcnt(0)
	v_fma_f32 v13, v4, v13, 0
.LBB11_15:                              ;   in Loop: Header=BB11_13 Depth=1
	s_or_b32 exec_lo, exec_lo, s11
	s_waitcnt lgkmcnt(0)
	ds_bpermute_b32 v14, v7, v13
	s_mov_b32 s11, exec_lo
	s_waitcnt lgkmcnt(0)
	v_add_f32_e32 v13, v13, v14
	ds_bpermute_b32 v14, v8, v13
	s_waitcnt lgkmcnt(0)
	v_add_f32_e32 v13, v13, v14
	ds_bpermute_b32 v14, v9, v13
	;; [unrolled: 3-line block ×4, first 2 shown]
	v_cmpx_eq_u32_e64 s9, v0
	s_cbranch_execz .LBB11_12
; %bb.16:                               ;   in Loop: Header=BB11_13 Depth=1
	ds_read_b32 v15, v12
	s_waitcnt lgkmcnt(1)
	v_add_f32_e32 v13, v13, v14
	s_waitcnt vmcnt(0)
	v_sub_f32_e32 v4, v4, v13
	s_waitcnt lgkmcnt(0)
	v_div_scale_f32 v13, null, v15, v15, v4
	v_rcp_f32_e32 v14, v13
	v_fma_f32 v16, -v13, v14, 1.0
	v_fmac_f32_e32 v14, v16, v14
	v_div_scale_f32 v16, vcc_lo, v4, v15, v4
	v_mul_f32_e32 v17, v16, v14
	v_fma_f32 v18, -v13, v17, v16
	v_fmac_f32_e32 v17, v18, v14
	v_fma_f32 v13, -v13, v17, v16
	v_div_fmas_f32 v13, v13, v14, v17
	v_div_fixup_f32 v4, v13, v15, v4
	s_branch .LBB11_12
.LBB11_17:
	s_cmp_lt_i32 s2, 33
	s_cbranch_scc1 .LBB11_24
; %bb.18:
	v_xor_b32_e32 v6, 16, v5
	v_xor_b32_e32 v7, 8, v5
	;; [unrolled: 1-line block ×5, first 2 shown]
	v_cmp_gt_i32_e32 vcc_lo, 32, v6
	s_lshl_b32 s10, s2, 7
	s_lshl_b32 s8, s2, 2
	s_mov_b32 s9, 32
	s_add_i32 s11, s8, 4
	v_cndmask_b32_e32 v6, v5, v6, vcc_lo
	v_cmp_gt_i32_e32 vcc_lo, 32, v7
	v_lshlrev_b32_e32 v6, 2, v6
	v_cndmask_b32_e32 v7, v5, v7, vcc_lo
	v_cmp_gt_i32_e32 vcc_lo, 32, v8
	v_cndmask_b32_e32 v8, v5, v8, vcc_lo
	v_cmp_gt_i32_e32 vcc_lo, 32, v9
	;; [unrolled: 2-line block ×3, first 2 shown]
	v_cndmask_b32_e32 v10, v5, v10, vcc_lo
	v_lshlrev_b32_e32 v5, 2, v7
	v_lshlrev_b32_e32 v7, 2, v8
	;; [unrolled: 1-line block ×4, first 2 shown]
	v_lshl_add_u32 v10, v0, 2, s10
	s_addk_i32 s10, 0x80
	s_branch .LBB11_20
.LBB11_19:                              ;   in Loop: Header=BB11_20 Depth=1
	s_or_b32 exec_lo, exec_lo, s12
	v_add_nc_u32_e32 v10, s8, v10
	s_add_i32 s9, s9, 33
	s_add_i32 s10, s10, s11
	s_cmp_eq_u32 s9, s2
	s_cbranch_scc1 .LBB11_24
.LBB11_20:                              ; =>This Inner Loop Header: Depth=1
	ds_read_b32 v11, v10
	s_mov_b32 s12, exec_lo
	s_waitcnt vmcnt(0) lgkmcnt(0)
	v_mul_f32_e32 v11, v4, v11
	v_cmpx_gt_u32_e64 s9, v3
	s_cbranch_execz .LBB11_22
; %bb.21:                               ;   in Loop: Header=BB11_20 Depth=1
	ds_read_b32 v12, v10 offset:128
	s_waitcnt lgkmcnt(0)
	v_fmac_f32_e32 v11, v2, v12
.LBB11_22:                              ;   in Loop: Header=BB11_20 Depth=1
	s_or_b32 exec_lo, exec_lo, s12
	ds_bpermute_b32 v12, v6, v11
	s_sub_i32 s9, s9, 32
	s_mov_b32 s12, exec_lo
	s_waitcnt lgkmcnt(0)
	v_add_f32_e32 v11, v11, v12
	ds_bpermute_b32 v12, v5, v11
	s_waitcnt lgkmcnt(0)
	v_add_f32_e32 v11, v11, v12
	ds_bpermute_b32 v12, v7, v11
	;; [unrolled: 3-line block ×4, first 2 shown]
	v_cmpx_eq_u32_e64 s9, v0
	s_cbranch_execz .LBB11_19
; %bb.23:                               ;   in Loop: Header=BB11_20 Depth=1
	v_mov_b32_e32 v13, s10
	s_waitcnt lgkmcnt(0)
	v_add_f32_e32 v11, v11, v12
	ds_read_b32 v13, v13
	v_sub_f32_e32 v2, v2, v11
	s_waitcnt lgkmcnt(0)
	v_div_scale_f32 v11, null, v13, v13, v2
	v_rcp_f32_e32 v12, v11
	v_fma_f32 v14, -v11, v12, 1.0
	v_fmac_f32_e32 v12, v14, v12
	v_div_scale_f32 v14, vcc_lo, v2, v13, v2
	v_mul_f32_e32 v15, v14, v12
	v_fma_f32 v16, -v11, v15, v14
	v_fmac_f32_e32 v15, v16, v12
	v_fma_f32 v11, -v11, v15, v14
	v_div_fmas_f32 v11, v11, v12, v15
	v_div_fixup_f32 v2, v11, v13, v2
	s_branch .LBB11_19
.LBB11_24:
	s_mul_i32 s2, s17, s6
	s_mul_hi_u32 s9, s16, s6
	s_mul_i32 s8, s16, s6
	s_add_i32 s9, s9, s2
	s_mul_i32 s2, s19, s7
	s_lshl_b64 s[8:9], s[8:9], 2
	s_waitcnt lgkmcnt(0)
	s_add_u32 s6, s4, s8
	s_mul_hi_u32 s4, s18, s7
	s_addc_u32 s8, s5, s9
	s_add_i32 s5, s4, s2
	s_mul_i32 s4, s18, s7
	s_lshl_b64 s[4:5], s[4:5], 2
	s_add_u32 s2, s6, s4
	s_addc_u32 s4, s8, s5
	s_and_saveexec_b32 s5, s0
	s_cbranch_execz .LBB11_26
; %bb.25:
	s_waitcnt vmcnt(0)
	v_mad_u64_u32 v[5:6], null, v0, s3, v[1:2]
	v_mov_b32_e32 v6, 0
	v_cmp_gt_u32_e32 vcc_lo, 32, v0
	v_cndmask_b32_e32 v0, v2, v4, vcc_lo
	v_lshlrev_b64 v[5:6], 2, v[5:6]
	v_add_co_u32 v4, vcc_lo, s2, v5
	v_add_co_ci_u32_e64 v5, null, s4, v6, vcc_lo
	global_store_dword v[4:5], v0, off
.LBB11_26:
	s_or_b32 exec_lo, exec_lo, s5
	s_and_b32 exec_lo, exec_lo, s1
	s_cbranch_execz .LBB11_28
; %bb.27:
	s_waitcnt vmcnt(0)
	v_mad_u64_u32 v[0:1], null, v3, s3, v[1:2]
	v_mov_b32_e32 v1, 0
	v_lshlrev_b64 v[0:1], 2, v[0:1]
	v_add_co_u32 v0, vcc_lo, s2, v0
	v_add_co_ci_u32_e64 v1, null, s4, v1, vcc_lo
	global_store_dword v[0:1], v2, off
.LBB11_28:
	s_endpgm
	.section	.rodata,"a",@progbits
	.p2align	6, 0x0
	.amdhsa_kernel _ZL18solve_tri_f32_fastILi0ELi0EEvPKfS1_Pf15HIP_vector_typeIjLj3EEmmmmmmii
		.amdhsa_group_segment_fixed_size 16384
		.amdhsa_private_segment_fixed_size 0
		.amdhsa_kernarg_size 352
		.amdhsa_user_sgpr_count 6
		.amdhsa_user_sgpr_private_segment_buffer 1
		.amdhsa_user_sgpr_dispatch_ptr 0
		.amdhsa_user_sgpr_queue_ptr 0
		.amdhsa_user_sgpr_kernarg_segment_ptr 1
		.amdhsa_user_sgpr_dispatch_id 0
		.amdhsa_user_sgpr_flat_scratch_init 0
		.amdhsa_user_sgpr_private_segment_size 0
		.amdhsa_wavefront_size32 1
		.amdhsa_uses_dynamic_stack 0
		.amdhsa_system_sgpr_private_segment_wavefront_offset 0
		.amdhsa_system_sgpr_workgroup_id_x 1
		.amdhsa_system_sgpr_workgroup_id_y 0
		.amdhsa_system_sgpr_workgroup_id_z 0
		.amdhsa_system_sgpr_workgroup_info 0
		.amdhsa_system_vgpr_workitem_id 1
		.amdhsa_next_free_vgpr 19
		.amdhsa_next_free_sgpr 25
		.amdhsa_reserve_vcc 1
		.amdhsa_reserve_flat_scratch 0
		.amdhsa_float_round_mode_32 0
		.amdhsa_float_round_mode_16_64 0
		.amdhsa_float_denorm_mode_32 3
		.amdhsa_float_denorm_mode_16_64 3
		.amdhsa_dx10_clamp 1
		.amdhsa_ieee_mode 1
		.amdhsa_fp16_overflow 0
		.amdhsa_workgroup_processor_mode 1
		.amdhsa_memory_ordered 1
		.amdhsa_forward_progress 1
		.amdhsa_shared_vgpr_count 0
		.amdhsa_exception_fp_ieee_invalid_op 0
		.amdhsa_exception_fp_denorm_src 0
		.amdhsa_exception_fp_ieee_div_zero 0
		.amdhsa_exception_fp_ieee_overflow 0
		.amdhsa_exception_fp_ieee_underflow 0
		.amdhsa_exception_fp_ieee_inexact 0
		.amdhsa_exception_int_div_zero 0
	.end_amdhsa_kernel
	.section	.text._ZL18solve_tri_f32_fastILi0ELi0EEvPKfS1_Pf15HIP_vector_typeIjLj3EEmmmmmmii,"axG",@progbits,_ZL18solve_tri_f32_fastILi0ELi0EEvPKfS1_Pf15HIP_vector_typeIjLj3EEmmmmmmii,comdat
.Lfunc_end11:
	.size	_ZL18solve_tri_f32_fastILi0ELi0EEvPKfS1_Pf15HIP_vector_typeIjLj3EEmmmmmmii, .Lfunc_end11-_ZL18solve_tri_f32_fastILi0ELi0EEvPKfS1_Pf15HIP_vector_typeIjLj3EEmmmmmmii
                                        ; -- End function
	.set _ZL18solve_tri_f32_fastILi0ELi0EEvPKfS1_Pf15HIP_vector_typeIjLj3EEmmmmmmii.num_vgpr, 19
	.set _ZL18solve_tri_f32_fastILi0ELi0EEvPKfS1_Pf15HIP_vector_typeIjLj3EEmmmmmmii.num_agpr, 0
	.set _ZL18solve_tri_f32_fastILi0ELi0EEvPKfS1_Pf15HIP_vector_typeIjLj3EEmmmmmmii.numbered_sgpr, 25
	.set _ZL18solve_tri_f32_fastILi0ELi0EEvPKfS1_Pf15HIP_vector_typeIjLj3EEmmmmmmii.num_named_barrier, 0
	.set _ZL18solve_tri_f32_fastILi0ELi0EEvPKfS1_Pf15HIP_vector_typeIjLj3EEmmmmmmii.private_seg_size, 0
	.set _ZL18solve_tri_f32_fastILi0ELi0EEvPKfS1_Pf15HIP_vector_typeIjLj3EEmmmmmmii.uses_vcc, 1
	.set _ZL18solve_tri_f32_fastILi0ELi0EEvPKfS1_Pf15HIP_vector_typeIjLj3EEmmmmmmii.uses_flat_scratch, 0
	.set _ZL18solve_tri_f32_fastILi0ELi0EEvPKfS1_Pf15HIP_vector_typeIjLj3EEmmmmmmii.has_dyn_sized_stack, 0
	.set _ZL18solve_tri_f32_fastILi0ELi0EEvPKfS1_Pf15HIP_vector_typeIjLj3EEmmmmmmii.has_recursion, 0
	.set _ZL18solve_tri_f32_fastILi0ELi0EEvPKfS1_Pf15HIP_vector_typeIjLj3EEmmmmmmii.has_indirect_call, 0
	.section	.AMDGPU.csdata,"",@progbits
; Kernel info:
; codeLenInByte = 1536
; TotalNumSgprs: 27
; NumVgprs: 19
; ScratchSize: 0
; MemoryBound: 0
; FloatMode: 240
; IeeeMode: 1
; LDSByteSize: 16384 bytes/workgroup (compile time only)
; SGPRBlocks: 0
; VGPRBlocks: 2
; NumSGPRsForWavesPerEU: 27
; NumVGPRsForWavesPerEU: 19
; Occupancy: 16
; WaveLimiterHint : 0
; COMPUTE_PGM_RSRC2:SCRATCH_EN: 0
; COMPUTE_PGM_RSRC2:USER_SGPR: 6
; COMPUTE_PGM_RSRC2:TRAP_HANDLER: 0
; COMPUTE_PGM_RSRC2:TGID_X_EN: 1
; COMPUTE_PGM_RSRC2:TGID_Y_EN: 0
; COMPUTE_PGM_RSRC2:TGID_Z_EN: 0
; COMPUTE_PGM_RSRC2:TIDIG_COMP_CNT: 1
	.section	.AMDGPU.gpr_maximums,"",@progbits
	.set amdgpu.max_num_vgpr, 0
	.set amdgpu.max_num_agpr, 0
	.set amdgpu.max_num_sgpr, 0
	.section	.AMDGPU.csdata,"",@progbits
	.type	__hip_cuid_9b1b1fe1dc23e315,@object ; @__hip_cuid_9b1b1fe1dc23e315
	.section	.bss,"aw",@nobits
	.globl	__hip_cuid_9b1b1fe1dc23e315
__hip_cuid_9b1b1fe1dc23e315:
	.byte	0                               ; 0x0
	.size	__hip_cuid_9b1b1fe1dc23e315, 1

	.ident	"AMD clang version 22.0.0git (https://github.com/RadeonOpenCompute/llvm-project roc-7.2.4 26084 f58b06dce1f9c15707c5f808fd002e18c2accf7e)"
	.section	".note.GNU-stack","",@progbits
	.addrsig
	.addrsig_sym __hip_cuid_9b1b1fe1dc23e315
	.amdgpu_metadata
---
amdhsa.kernels:
  - .args:
      - .address_space:  global
        .offset:         0
        .size:           8
        .value_kind:     global_buffer
      - .address_space:  global
        .offset:         8
        .size:           8
        .value_kind:     global_buffer
      - .address_space:  global
        .offset:         16
        .size:           8
        .value_kind:     global_buffer
      - .address_space:  global
        .offset:         24
        .size:           8
        .value_kind:     global_buffer
      - .offset:         32
        .size:           8
        .value_kind:     by_value
      - .offset:         40
        .size:           8
        .value_kind:     by_value
      - .offset:         48
        .size:           8
        .value_kind:     by_value
      - .offset:         56
        .size:           8
        .value_kind:     by_value
      - .offset:         64
        .size:           8
        .value_kind:     by_value
      - .offset:         72
        .size:           8
        .value_kind:     by_value
      - .offset:         80
        .size:           4
        .value_kind:     hidden_block_count_x
      - .offset:         84
        .size:           4
        .value_kind:     hidden_block_count_y
      - .offset:         88
        .size:           4
        .value_kind:     hidden_block_count_z
      - .offset:         92
        .size:           2
        .value_kind:     hidden_group_size_x
      - .offset:         94
        .size:           2
        .value_kind:     hidden_group_size_y
      - .offset:         96
        .size:           2
        .value_kind:     hidden_group_size_z
      - .offset:         98
        .size:           2
        .value_kind:     hidden_remainder_x
      - .offset:         100
        .size:           2
        .value_kind:     hidden_remainder_y
      - .offset:         102
        .size:           2
        .value_kind:     hidden_remainder_z
      - .offset:         120
        .size:           8
        .value_kind:     hidden_global_offset_x
      - .offset:         128
        .size:           8
        .value_kind:     hidden_global_offset_y
      - .offset:         136
        .size:           8
        .value_kind:     hidden_global_offset_z
      - .offset:         144
        .size:           2
        .value_kind:     hidden_grid_dims
    .group_segment_fixed_size: 0
    .kernarg_segment_align: 8
    .kernarg_segment_size: 336
    .language:       OpenCL C
    .language_version:
      - 2
      - 0
    .max_flat_workgroup_size: 1024
    .name:           _ZL18get_batch_pointersPKfPfPS0_PS1_llmmmm
    .private_segment_fixed_size: 0
    .sgpr_count:     33
    .sgpr_spill_count: 0
    .symbol:         _ZL18get_batch_pointersPKfPfPS0_PS1_llmmmm.kd
    .uniform_work_group_size: 1
    .uses_dynamic_stack: false
    .vgpr_count:     15
    .vgpr_spill_count: 0
    .wavefront_size: 32
    .workgroup_processor_mode: 1
  - .args:
      - .actual_access:  read_only
        .address_space:  global
        .offset:         0
        .size:           8
        .value_kind:     global_buffer
      - .actual_access:  read_only
        .address_space:  global
        .offset:         8
        .size:           8
        .value_kind:     global_buffer
      - .actual_access:  write_only
        .address_space:  global
        .offset:         16
        .size:           8
        .value_kind:     global_buffer
      - .offset:         24
        .size:           12
        .value_kind:     by_value
      - .offset:         40
        .size:           8
        .value_kind:     by_value
      - .offset:         48
        .size:           8
        .value_kind:     by_value
      - .offset:         56
        .size:           8
        .value_kind:     by_value
      - .offset:         64
        .size:           8
        .value_kind:     by_value
      - .offset:         72
        .size:           8
        .value_kind:     by_value
      - .offset:         80
        .size:           8
        .value_kind:     by_value
      - .offset:         88
        .size:           4
        .value_kind:     by_value
      - .offset:         92
        .size:           4
        .value_kind:     by_value
      - .offset:         96
        .size:           4
        .value_kind:     hidden_block_count_x
      - .offset:         100
        .size:           4
        .value_kind:     hidden_block_count_y
      - .offset:         104
        .size:           4
        .value_kind:     hidden_block_count_z
      - .offset:         108
        .size:           2
        .value_kind:     hidden_group_size_x
      - .offset:         110
        .size:           2
        .value_kind:     hidden_group_size_y
      - .offset:         112
        .size:           2
        .value_kind:     hidden_group_size_z
      - .offset:         114
        .size:           2
        .value_kind:     hidden_remainder_x
      - .offset:         116
        .size:           2
        .value_kind:     hidden_remainder_y
      - .offset:         118
        .size:           2
        .value_kind:     hidden_remainder_z
      - .offset:         136
        .size:           8
        .value_kind:     hidden_global_offset_x
      - .offset:         144
        .size:           8
        .value_kind:     hidden_global_offset_y
      - .offset:         152
        .size:           8
        .value_kind:     hidden_global_offset_z
      - .offset:         160
        .size:           2
        .value_kind:     hidden_grid_dims
    .group_segment_fixed_size: 16384
    .kernarg_segment_align: 8
    .kernarg_segment_size: 352
    .language:       OpenCL C
    .language_version:
      - 2
      - 0
    .max_flat_workgroup_size: 1024
    .name:           _ZL18solve_tri_f32_fastILi64ELi32EEvPKfS1_Pf15HIP_vector_typeIjLj3EEmmmmmmii
    .private_segment_fixed_size: 0
    .sgpr_count:     76
    .sgpr_spill_count: 0
    .symbol:         _ZL18solve_tri_f32_fastILi64ELi32EEvPKfS1_Pf15HIP_vector_typeIjLj3EEmmmmmmii.kd
    .uniform_work_group_size: 1
    .uses_dynamic_stack: false
    .vgpr_count:     17
    .vgpr_spill_count: 0
    .wavefront_size: 32
    .workgroup_processor_mode: 1
  - .args:
      - .actual_access:  read_only
        .address_space:  global
        .offset:         0
        .size:           8
        .value_kind:     global_buffer
      - .actual_access:  read_only
        .address_space:  global
        .offset:         8
        .size:           8
        .value_kind:     global_buffer
      - .actual_access:  write_only
        .address_space:  global
        .offset:         16
        .size:           8
        .value_kind:     global_buffer
      - .offset:         24
        .size:           12
        .value_kind:     by_value
      - .offset:         40
        .size:           8
        .value_kind:     by_value
      - .offset:         48
        .size:           8
        .value_kind:     by_value
      - .offset:         56
        .size:           8
        .value_kind:     by_value
      - .offset:         64
        .size:           8
        .value_kind:     by_value
      - .offset:         72
        .size:           8
        .value_kind:     by_value
      - .offset:         80
        .size:           8
        .value_kind:     by_value
      - .offset:         88
        .size:           4
        .value_kind:     by_value
      - .offset:         92
        .size:           4
        .value_kind:     by_value
      - .offset:         96
        .size:           4
        .value_kind:     hidden_block_count_x
      - .offset:         100
        .size:           4
        .value_kind:     hidden_block_count_y
      - .offset:         104
        .size:           4
        .value_kind:     hidden_block_count_z
      - .offset:         108
        .size:           2
        .value_kind:     hidden_group_size_x
      - .offset:         110
        .size:           2
        .value_kind:     hidden_group_size_y
      - .offset:         112
        .size:           2
        .value_kind:     hidden_group_size_z
      - .offset:         114
        .size:           2
        .value_kind:     hidden_remainder_x
      - .offset:         116
        .size:           2
        .value_kind:     hidden_remainder_y
      - .offset:         118
        .size:           2
        .value_kind:     hidden_remainder_z
      - .offset:         136
        .size:           8
        .value_kind:     hidden_global_offset_x
      - .offset:         144
        .size:           8
        .value_kind:     hidden_global_offset_y
      - .offset:         152
        .size:           8
        .value_kind:     hidden_global_offset_z
      - .offset:         160
        .size:           2
        .value_kind:     hidden_grid_dims
    .group_segment_fixed_size: 16384
    .kernarg_segment_align: 8
    .kernarg_segment_size: 352
    .language:       OpenCL C
    .language_version:
      - 2
      - 0
    .max_flat_workgroup_size: 1024
    .name:           _ZL18solve_tri_f32_fastILi64ELi16EEvPKfS1_Pf15HIP_vector_typeIjLj3EEmmmmmmii
    .private_segment_fixed_size: 0
    .sgpr_count:     76
    .sgpr_spill_count: 0
    .symbol:         _ZL18solve_tri_f32_fastILi64ELi16EEvPKfS1_Pf15HIP_vector_typeIjLj3EEmmmmmmii.kd
    .uniform_work_group_size: 1
    .uses_dynamic_stack: false
    .vgpr_count:     17
    .vgpr_spill_count: 0
    .wavefront_size: 32
    .workgroup_processor_mode: 1
  - .args:
      - .actual_access:  read_only
        .address_space:  global
        .offset:         0
        .size:           8
        .value_kind:     global_buffer
      - .actual_access:  read_only
        .address_space:  global
        .offset:         8
        .size:           8
        .value_kind:     global_buffer
      - .actual_access:  write_only
        .address_space:  global
        .offset:         16
        .size:           8
        .value_kind:     global_buffer
      - .offset:         24
        .size:           12
        .value_kind:     by_value
      - .offset:         40
        .size:           8
        .value_kind:     by_value
      - .offset:         48
        .size:           8
        .value_kind:     by_value
      - .offset:         56
        .size:           8
        .value_kind:     by_value
      - .offset:         64
        .size:           8
        .value_kind:     by_value
      - .offset:         72
        .size:           8
        .value_kind:     by_value
      - .offset:         80
        .size:           8
        .value_kind:     by_value
      - .offset:         88
        .size:           4
        .value_kind:     by_value
      - .offset:         92
        .size:           4
        .value_kind:     by_value
      - .offset:         96
        .size:           4
        .value_kind:     hidden_block_count_x
      - .offset:         100
        .size:           4
        .value_kind:     hidden_block_count_y
      - .offset:         104
        .size:           4
        .value_kind:     hidden_block_count_z
      - .offset:         108
        .size:           2
        .value_kind:     hidden_group_size_x
      - .offset:         110
        .size:           2
        .value_kind:     hidden_group_size_y
      - .offset:         112
        .size:           2
        .value_kind:     hidden_group_size_z
      - .offset:         114
        .size:           2
        .value_kind:     hidden_remainder_x
      - .offset:         116
        .size:           2
        .value_kind:     hidden_remainder_y
      - .offset:         118
        .size:           2
        .value_kind:     hidden_remainder_z
      - .offset:         136
        .size:           8
        .value_kind:     hidden_global_offset_x
      - .offset:         144
        .size:           8
        .value_kind:     hidden_global_offset_y
      - .offset:         152
        .size:           8
        .value_kind:     hidden_global_offset_z
      - .offset:         160
        .size:           2
        .value_kind:     hidden_grid_dims
    .group_segment_fixed_size: 16384
    .kernarg_segment_align: 8
    .kernarg_segment_size: 352
    .language:       OpenCL C
    .language_version:
      - 2
      - 0
    .max_flat_workgroup_size: 1024
    .name:           _ZL18solve_tri_f32_fastILi64ELi14EEvPKfS1_Pf15HIP_vector_typeIjLj3EEmmmmmmii
    .private_segment_fixed_size: 0
    .sgpr_count:     76
    .sgpr_spill_count: 0
    .symbol:         _ZL18solve_tri_f32_fastILi64ELi14EEvPKfS1_Pf15HIP_vector_typeIjLj3EEmmmmmmii.kd
    .uniform_work_group_size: 1
    .uses_dynamic_stack: false
    .vgpr_count:     18
    .vgpr_spill_count: 0
    .wavefront_size: 32
    .workgroup_processor_mode: 1
  - .args:
      - .actual_access:  read_only
        .address_space:  global
        .offset:         0
        .size:           8
        .value_kind:     global_buffer
      - .actual_access:  read_only
        .address_space:  global
        .offset:         8
        .size:           8
        .value_kind:     global_buffer
      - .actual_access:  write_only
        .address_space:  global
        .offset:         16
        .size:           8
        .value_kind:     global_buffer
      - .offset:         24
        .size:           12
        .value_kind:     by_value
      - .offset:         40
        .size:           8
        .value_kind:     by_value
      - .offset:         48
        .size:           8
        .value_kind:     by_value
      - .offset:         56
        .size:           8
        .value_kind:     by_value
      - .offset:         64
        .size:           8
        .value_kind:     by_value
      - .offset:         72
        .size:           8
        .value_kind:     by_value
      - .offset:         80
        .size:           8
        .value_kind:     by_value
      - .offset:         88
        .size:           4
        .value_kind:     by_value
      - .offset:         92
        .size:           4
        .value_kind:     by_value
      - .offset:         96
        .size:           4
        .value_kind:     hidden_block_count_x
      - .offset:         100
        .size:           4
        .value_kind:     hidden_block_count_y
      - .offset:         104
        .size:           4
        .value_kind:     hidden_block_count_z
      - .offset:         108
        .size:           2
        .value_kind:     hidden_group_size_x
      - .offset:         110
        .size:           2
        .value_kind:     hidden_group_size_y
      - .offset:         112
        .size:           2
        .value_kind:     hidden_group_size_z
      - .offset:         114
        .size:           2
        .value_kind:     hidden_remainder_x
      - .offset:         116
        .size:           2
        .value_kind:     hidden_remainder_y
      - .offset:         118
        .size:           2
        .value_kind:     hidden_remainder_z
      - .offset:         136
        .size:           8
        .value_kind:     hidden_global_offset_x
      - .offset:         144
        .size:           8
        .value_kind:     hidden_global_offset_y
      - .offset:         152
        .size:           8
        .value_kind:     hidden_global_offset_z
      - .offset:         160
        .size:           2
        .value_kind:     hidden_grid_dims
    .group_segment_fixed_size: 16384
    .kernarg_segment_align: 8
    .kernarg_segment_size: 352
    .language:       OpenCL C
    .language_version:
      - 2
      - 0
    .max_flat_workgroup_size: 1024
    .name:           _ZL18solve_tri_f32_fastILi64ELi12EEvPKfS1_Pf15HIP_vector_typeIjLj3EEmmmmmmii
    .private_segment_fixed_size: 0
    .sgpr_count:     76
    .sgpr_spill_count: 0
    .symbol:         _ZL18solve_tri_f32_fastILi64ELi12EEvPKfS1_Pf15HIP_vector_typeIjLj3EEmmmmmmii.kd
    .uniform_work_group_size: 1
    .uses_dynamic_stack: false
    .vgpr_count:     18
    .vgpr_spill_count: 0
    .wavefront_size: 32
    .workgroup_processor_mode: 1
  - .args:
      - .actual_access:  read_only
        .address_space:  global
        .offset:         0
        .size:           8
        .value_kind:     global_buffer
      - .actual_access:  read_only
        .address_space:  global
        .offset:         8
        .size:           8
        .value_kind:     global_buffer
      - .actual_access:  write_only
        .address_space:  global
        .offset:         16
        .size:           8
        .value_kind:     global_buffer
      - .offset:         24
        .size:           12
        .value_kind:     by_value
      - .offset:         40
        .size:           8
        .value_kind:     by_value
      - .offset:         48
        .size:           8
        .value_kind:     by_value
      - .offset:         56
        .size:           8
        .value_kind:     by_value
      - .offset:         64
        .size:           8
        .value_kind:     by_value
      - .offset:         72
        .size:           8
        .value_kind:     by_value
      - .offset:         80
        .size:           8
        .value_kind:     by_value
      - .offset:         88
        .size:           4
        .value_kind:     by_value
      - .offset:         92
        .size:           4
        .value_kind:     by_value
      - .offset:         96
        .size:           4
        .value_kind:     hidden_block_count_x
      - .offset:         100
        .size:           4
        .value_kind:     hidden_block_count_y
      - .offset:         104
        .size:           4
        .value_kind:     hidden_block_count_z
      - .offset:         108
        .size:           2
        .value_kind:     hidden_group_size_x
      - .offset:         110
        .size:           2
        .value_kind:     hidden_group_size_y
      - .offset:         112
        .size:           2
        .value_kind:     hidden_group_size_z
      - .offset:         114
        .size:           2
        .value_kind:     hidden_remainder_x
      - .offset:         116
        .size:           2
        .value_kind:     hidden_remainder_y
      - .offset:         118
        .size:           2
        .value_kind:     hidden_remainder_z
      - .offset:         136
        .size:           8
        .value_kind:     hidden_global_offset_x
      - .offset:         144
        .size:           8
        .value_kind:     hidden_global_offset_y
      - .offset:         152
        .size:           8
        .value_kind:     hidden_global_offset_z
      - .offset:         160
        .size:           2
        .value_kind:     hidden_grid_dims
    .group_segment_fixed_size: 16384
    .kernarg_segment_align: 8
    .kernarg_segment_size: 352
    .language:       OpenCL C
    .language_version:
      - 2
      - 0
    .max_flat_workgroup_size: 1024
    .name:           _ZL18solve_tri_f32_fastILi64ELi10EEvPKfS1_Pf15HIP_vector_typeIjLj3EEmmmmmmii
    .private_segment_fixed_size: 0
    .sgpr_count:     76
    .sgpr_spill_count: 0
    .symbol:         _ZL18solve_tri_f32_fastILi64ELi10EEvPKfS1_Pf15HIP_vector_typeIjLj3EEmmmmmmii.kd
    .uniform_work_group_size: 1
    .uses_dynamic_stack: false
    .vgpr_count:     18
    .vgpr_spill_count: 0
    .wavefront_size: 32
    .workgroup_processor_mode: 1
  - .args:
      - .actual_access:  read_only
        .address_space:  global
        .offset:         0
        .size:           8
        .value_kind:     global_buffer
      - .actual_access:  read_only
        .address_space:  global
        .offset:         8
        .size:           8
        .value_kind:     global_buffer
      - .actual_access:  write_only
        .address_space:  global
        .offset:         16
        .size:           8
        .value_kind:     global_buffer
      - .offset:         24
        .size:           12
        .value_kind:     by_value
      - .offset:         40
        .size:           8
        .value_kind:     by_value
      - .offset:         48
        .size:           8
        .value_kind:     by_value
      - .offset:         56
        .size:           8
        .value_kind:     by_value
      - .offset:         64
        .size:           8
        .value_kind:     by_value
      - .offset:         72
        .size:           8
        .value_kind:     by_value
      - .offset:         80
        .size:           8
        .value_kind:     by_value
      - .offset:         88
        .size:           4
        .value_kind:     by_value
      - .offset:         92
        .size:           4
        .value_kind:     by_value
      - .offset:         96
        .size:           4
        .value_kind:     hidden_block_count_x
      - .offset:         100
        .size:           4
        .value_kind:     hidden_block_count_y
      - .offset:         104
        .size:           4
        .value_kind:     hidden_block_count_z
      - .offset:         108
        .size:           2
        .value_kind:     hidden_group_size_x
      - .offset:         110
        .size:           2
        .value_kind:     hidden_group_size_y
      - .offset:         112
        .size:           2
        .value_kind:     hidden_group_size_z
      - .offset:         114
        .size:           2
        .value_kind:     hidden_remainder_x
      - .offset:         116
        .size:           2
        .value_kind:     hidden_remainder_y
      - .offset:         118
        .size:           2
        .value_kind:     hidden_remainder_z
      - .offset:         136
        .size:           8
        .value_kind:     hidden_global_offset_x
      - .offset:         144
        .size:           8
        .value_kind:     hidden_global_offset_y
      - .offset:         152
        .size:           8
        .value_kind:     hidden_global_offset_z
      - .offset:         160
        .size:           2
        .value_kind:     hidden_grid_dims
    .group_segment_fixed_size: 16384
    .kernarg_segment_align: 8
    .kernarg_segment_size: 352
    .language:       OpenCL C
    .language_version:
      - 2
      - 0
    .max_flat_workgroup_size: 1024
    .name:           _ZL18solve_tri_f32_fastILi64ELi8EEvPKfS1_Pf15HIP_vector_typeIjLj3EEmmmmmmii
    .private_segment_fixed_size: 0
    .sgpr_count:     76
    .sgpr_spill_count: 0
    .symbol:         _ZL18solve_tri_f32_fastILi64ELi8EEvPKfS1_Pf15HIP_vector_typeIjLj3EEmmmmmmii.kd
    .uniform_work_group_size: 1
    .uses_dynamic_stack: false
    .vgpr_count:     17
    .vgpr_spill_count: 0
    .wavefront_size: 32
    .workgroup_processor_mode: 1
  - .args:
      - .actual_access:  read_only
        .address_space:  global
        .offset:         0
        .size:           8
        .value_kind:     global_buffer
      - .actual_access:  read_only
        .address_space:  global
        .offset:         8
        .size:           8
        .value_kind:     global_buffer
      - .actual_access:  write_only
        .address_space:  global
        .offset:         16
        .size:           8
        .value_kind:     global_buffer
      - .offset:         24
        .size:           12
        .value_kind:     by_value
      - .offset:         40
        .size:           8
        .value_kind:     by_value
      - .offset:         48
        .size:           8
        .value_kind:     by_value
      - .offset:         56
        .size:           8
        .value_kind:     by_value
      - .offset:         64
        .size:           8
        .value_kind:     by_value
      - .offset:         72
        .size:           8
        .value_kind:     by_value
      - .offset:         80
        .size:           8
        .value_kind:     by_value
      - .offset:         88
        .size:           4
        .value_kind:     by_value
      - .offset:         92
        .size:           4
        .value_kind:     by_value
      - .offset:         96
        .size:           4
        .value_kind:     hidden_block_count_x
      - .offset:         100
        .size:           4
        .value_kind:     hidden_block_count_y
      - .offset:         104
        .size:           4
        .value_kind:     hidden_block_count_z
      - .offset:         108
        .size:           2
        .value_kind:     hidden_group_size_x
      - .offset:         110
        .size:           2
        .value_kind:     hidden_group_size_y
      - .offset:         112
        .size:           2
        .value_kind:     hidden_group_size_z
      - .offset:         114
        .size:           2
        .value_kind:     hidden_remainder_x
      - .offset:         116
        .size:           2
        .value_kind:     hidden_remainder_y
      - .offset:         118
        .size:           2
        .value_kind:     hidden_remainder_z
      - .offset:         136
        .size:           8
        .value_kind:     hidden_global_offset_x
      - .offset:         144
        .size:           8
        .value_kind:     hidden_global_offset_y
      - .offset:         152
        .size:           8
        .value_kind:     hidden_global_offset_z
      - .offset:         160
        .size:           2
        .value_kind:     hidden_grid_dims
    .group_segment_fixed_size: 16384
    .kernarg_segment_align: 8
    .kernarg_segment_size: 352
    .language:       OpenCL C
    .language_version:
      - 2
      - 0
    .max_flat_workgroup_size: 1024
    .name:           _ZL18solve_tri_f32_fastILi64ELi6EEvPKfS1_Pf15HIP_vector_typeIjLj3EEmmmmmmii
    .private_segment_fixed_size: 0
    .sgpr_count:     76
    .sgpr_spill_count: 0
    .symbol:         _ZL18solve_tri_f32_fastILi64ELi6EEvPKfS1_Pf15HIP_vector_typeIjLj3EEmmmmmmii.kd
    .uniform_work_group_size: 1
    .uses_dynamic_stack: false
    .vgpr_count:     18
    .vgpr_spill_count: 0
    .wavefront_size: 32
    .workgroup_processor_mode: 1
  - .args:
      - .actual_access:  read_only
        .address_space:  global
        .offset:         0
        .size:           8
        .value_kind:     global_buffer
      - .actual_access:  read_only
        .address_space:  global
        .offset:         8
        .size:           8
        .value_kind:     global_buffer
      - .actual_access:  write_only
        .address_space:  global
        .offset:         16
        .size:           8
        .value_kind:     global_buffer
      - .offset:         24
        .size:           12
        .value_kind:     by_value
      - .offset:         40
        .size:           8
        .value_kind:     by_value
      - .offset:         48
        .size:           8
        .value_kind:     by_value
      - .offset:         56
        .size:           8
        .value_kind:     by_value
      - .offset:         64
        .size:           8
        .value_kind:     by_value
      - .offset:         72
        .size:           8
        .value_kind:     by_value
      - .offset:         80
        .size:           8
        .value_kind:     by_value
      - .offset:         88
        .size:           4
        .value_kind:     by_value
      - .offset:         92
        .size:           4
        .value_kind:     by_value
      - .offset:         96
        .size:           4
        .value_kind:     hidden_block_count_x
      - .offset:         100
        .size:           4
        .value_kind:     hidden_block_count_y
      - .offset:         104
        .size:           4
        .value_kind:     hidden_block_count_z
      - .offset:         108
        .size:           2
        .value_kind:     hidden_group_size_x
      - .offset:         110
        .size:           2
        .value_kind:     hidden_group_size_y
      - .offset:         112
        .size:           2
        .value_kind:     hidden_group_size_z
      - .offset:         114
        .size:           2
        .value_kind:     hidden_remainder_x
      - .offset:         116
        .size:           2
        .value_kind:     hidden_remainder_y
      - .offset:         118
        .size:           2
        .value_kind:     hidden_remainder_z
      - .offset:         136
        .size:           8
        .value_kind:     hidden_global_offset_x
      - .offset:         144
        .size:           8
        .value_kind:     hidden_global_offset_y
      - .offset:         152
        .size:           8
        .value_kind:     hidden_global_offset_z
      - .offset:         160
        .size:           2
        .value_kind:     hidden_grid_dims
    .group_segment_fixed_size: 16384
    .kernarg_segment_align: 8
    .kernarg_segment_size: 352
    .language:       OpenCL C
    .language_version:
      - 2
      - 0
    .max_flat_workgroup_size: 1024
    .name:           _ZL18solve_tri_f32_fastILi64ELi4EEvPKfS1_Pf15HIP_vector_typeIjLj3EEmmmmmmii
    .private_segment_fixed_size: 0
    .sgpr_count:     76
    .sgpr_spill_count: 0
    .symbol:         _ZL18solve_tri_f32_fastILi64ELi4EEvPKfS1_Pf15HIP_vector_typeIjLj3EEmmmmmmii.kd
    .uniform_work_group_size: 1
    .uses_dynamic_stack: false
    .vgpr_count:     17
    .vgpr_spill_count: 0
    .wavefront_size: 32
    .workgroup_processor_mode: 1
  - .args:
      - .actual_access:  read_only
        .address_space:  global
        .offset:         0
        .size:           8
        .value_kind:     global_buffer
      - .actual_access:  read_only
        .address_space:  global
        .offset:         8
        .size:           8
        .value_kind:     global_buffer
      - .actual_access:  write_only
        .address_space:  global
        .offset:         16
        .size:           8
        .value_kind:     global_buffer
      - .offset:         24
        .size:           12
        .value_kind:     by_value
      - .offset:         40
        .size:           8
        .value_kind:     by_value
      - .offset:         48
        .size:           8
        .value_kind:     by_value
      - .offset:         56
        .size:           8
        .value_kind:     by_value
      - .offset:         64
        .size:           8
        .value_kind:     by_value
      - .offset:         72
        .size:           8
        .value_kind:     by_value
      - .offset:         80
        .size:           8
        .value_kind:     by_value
      - .offset:         88
        .size:           4
        .value_kind:     by_value
      - .offset:         92
        .size:           4
        .value_kind:     by_value
      - .offset:         96
        .size:           4
        .value_kind:     hidden_block_count_x
      - .offset:         100
        .size:           4
        .value_kind:     hidden_block_count_y
      - .offset:         104
        .size:           4
        .value_kind:     hidden_block_count_z
      - .offset:         108
        .size:           2
        .value_kind:     hidden_group_size_x
      - .offset:         110
        .size:           2
        .value_kind:     hidden_group_size_y
      - .offset:         112
        .size:           2
        .value_kind:     hidden_group_size_z
      - .offset:         114
        .size:           2
        .value_kind:     hidden_remainder_x
      - .offset:         116
        .size:           2
        .value_kind:     hidden_remainder_y
      - .offset:         118
        .size:           2
        .value_kind:     hidden_remainder_z
      - .offset:         136
        .size:           8
        .value_kind:     hidden_global_offset_x
      - .offset:         144
        .size:           8
        .value_kind:     hidden_global_offset_y
      - .offset:         152
        .size:           8
        .value_kind:     hidden_global_offset_z
      - .offset:         160
        .size:           2
        .value_kind:     hidden_grid_dims
    .group_segment_fixed_size: 16384
    .kernarg_segment_align: 8
    .kernarg_segment_size: 352
    .language:       OpenCL C
    .language_version:
      - 2
      - 0
    .max_flat_workgroup_size: 1024
    .name:           _ZL18solve_tri_f32_fastILi64ELi2EEvPKfS1_Pf15HIP_vector_typeIjLj3EEmmmmmmii
    .private_segment_fixed_size: 0
    .sgpr_count:     76
    .sgpr_spill_count: 0
    .symbol:         _ZL18solve_tri_f32_fastILi64ELi2EEvPKfS1_Pf15HIP_vector_typeIjLj3EEmmmmmmii.kd
    .uniform_work_group_size: 1
    .uses_dynamic_stack: false
    .vgpr_count:     17
    .vgpr_spill_count: 0
    .wavefront_size: 32
    .workgroup_processor_mode: 1
  - .args:
      - .actual_access:  read_only
        .address_space:  global
        .offset:         0
        .size:           8
        .value_kind:     global_buffer
      - .actual_access:  read_only
        .address_space:  global
        .offset:         8
        .size:           8
        .value_kind:     global_buffer
      - .actual_access:  write_only
        .address_space:  global
        .offset:         16
        .size:           8
        .value_kind:     global_buffer
      - .offset:         24
        .size:           12
        .value_kind:     by_value
      - .offset:         40
        .size:           8
        .value_kind:     by_value
      - .offset:         48
        .size:           8
        .value_kind:     by_value
      - .offset:         56
        .size:           8
        .value_kind:     by_value
      - .offset:         64
        .size:           8
        .value_kind:     by_value
      - .offset:         72
        .size:           8
        .value_kind:     by_value
      - .offset:         80
        .size:           8
        .value_kind:     by_value
      - .offset:         88
        .size:           4
        .value_kind:     by_value
      - .offset:         92
        .size:           4
        .value_kind:     by_value
    .group_segment_fixed_size: 16384
    .kernarg_segment_align: 8
    .kernarg_segment_size: 96
    .language:       OpenCL C
    .language_version:
      - 2
      - 0
    .max_flat_workgroup_size: 1024
    .name:           _ZL18solve_tri_f32_fastILi64ELi1EEvPKfS1_Pf15HIP_vector_typeIjLj3EEmmmmmmii
    .private_segment_fixed_size: 0
    .sgpr_count:     76
    .sgpr_spill_count: 0
    .symbol:         _ZL18solve_tri_f32_fastILi64ELi1EEvPKfS1_Pf15HIP_vector_typeIjLj3EEmmmmmmii.kd
    .uniform_work_group_size: 1
    .uses_dynamic_stack: false
    .vgpr_count:     63
    .vgpr_spill_count: 0
    .wavefront_size: 32
    .workgroup_processor_mode: 1
  - .args:
      - .actual_access:  read_only
        .address_space:  global
        .offset:         0
        .size:           8
        .value_kind:     global_buffer
      - .actual_access:  read_only
        .address_space:  global
        .offset:         8
        .size:           8
        .value_kind:     global_buffer
      - .actual_access:  write_only
        .address_space:  global
        .offset:         16
        .size:           8
        .value_kind:     global_buffer
      - .offset:         24
        .size:           12
        .value_kind:     by_value
      - .offset:         40
        .size:           8
        .value_kind:     by_value
      - .offset:         48
        .size:           8
        .value_kind:     by_value
      - .offset:         56
        .size:           8
        .value_kind:     by_value
      - .offset:         64
        .size:           8
        .value_kind:     by_value
      - .offset:         72
        .size:           8
        .value_kind:     by_value
      - .offset:         80
        .size:           8
        .value_kind:     by_value
      - .offset:         88
        .size:           4
        .value_kind:     by_value
      - .offset:         92
        .size:           4
        .value_kind:     by_value
      - .offset:         96
        .size:           4
        .value_kind:     hidden_block_count_x
      - .offset:         100
        .size:           4
        .value_kind:     hidden_block_count_y
      - .offset:         104
        .size:           4
        .value_kind:     hidden_block_count_z
      - .offset:         108
        .size:           2
        .value_kind:     hidden_group_size_x
      - .offset:         110
        .size:           2
        .value_kind:     hidden_group_size_y
      - .offset:         112
        .size:           2
        .value_kind:     hidden_group_size_z
      - .offset:         114
        .size:           2
        .value_kind:     hidden_remainder_x
      - .offset:         116
        .size:           2
        .value_kind:     hidden_remainder_y
      - .offset:         118
        .size:           2
        .value_kind:     hidden_remainder_z
      - .offset:         136
        .size:           8
        .value_kind:     hidden_global_offset_x
      - .offset:         144
        .size:           8
        .value_kind:     hidden_global_offset_y
      - .offset:         152
        .size:           8
        .value_kind:     hidden_global_offset_z
      - .offset:         160
        .size:           2
        .value_kind:     hidden_grid_dims
    .group_segment_fixed_size: 16384
    .kernarg_segment_align: 8
    .kernarg_segment_size: 352
    .language:       OpenCL C
    .language_version:
      - 2
      - 0
    .max_flat_workgroup_size: 1024
    .name:           _ZL18solve_tri_f32_fastILi0ELi0EEvPKfS1_Pf15HIP_vector_typeIjLj3EEmmmmmmii
    .private_segment_fixed_size: 0
    .sgpr_count:     27
    .sgpr_spill_count: 0
    .symbol:         _ZL18solve_tri_f32_fastILi0ELi0EEvPKfS1_Pf15HIP_vector_typeIjLj3EEmmmmmmii.kd
    .uniform_work_group_size: 1
    .uses_dynamic_stack: false
    .vgpr_count:     19
    .vgpr_spill_count: 0
    .wavefront_size: 32
    .workgroup_processor_mode: 1
amdhsa.target:   amdgcn-amd-amdhsa--gfx1030
amdhsa.version:
  - 1
  - 2
...

	.end_amdgpu_metadata
